;; amdgpu-corpus repo=ROCm/rocFFT kind=compiled arch=gfx950 opt=O3
	.text
	.amdgcn_target "amdgcn-amd-amdhsa--gfx950"
	.amdhsa_code_object_version 6
	.protected	bluestein_single_back_len180_dim1_half_op_CI_CI ; -- Begin function bluestein_single_back_len180_dim1_half_op_CI_CI
	.globl	bluestein_single_back_len180_dim1_half_op_CI_CI
	.p2align	8
	.type	bluestein_single_back_len180_dim1_half_op_CI_CI,@function
bluestein_single_back_len180_dim1_half_op_CI_CI: ; @bluestein_single_back_len180_dim1_half_op_CI_CI
; %bb.0:
	s_load_dwordx4 s[8:11], s[0:1], 0x28
	v_mul_u32_u24_e32 v1, 0x445, v0
	v_lshrrev_b32_e32 v1, 16, v1
	v_lshl_add_u32 v4, s2, 2, v1
	v_mov_b32_e32 v5, 0
	s_waitcnt lgkmcnt(0)
	v_cmp_gt_u64_e32 vcc, s[8:9], v[4:5]
	s_and_saveexec_b64 s[2:3], vcc
	s_cbranch_execz .LBB0_23
; %bb.1:
	s_load_dwordx2 s[12:13], s[0:1], 0x0
	s_load_dwordx2 s[2:3], s[0:1], 0x38
	v_mul_lo_u16_e32 v2, 60, v1
	v_sub_u16_e32 v20, v0, v2
	v_and_b32_e32 v0, 3, v1
	v_mul_u32_u24_e32 v21, 0xb4, v0
	v_cmp_gt_u16_e32 vcc, 18, v20
	v_lshlrev_b32_e32 v5, 2, v20
	v_lshlrev_b32_e32 v22, 2, v21
	s_and_saveexec_b64 s[8:9], vcc
	s_cbranch_execz .LBB0_3
; %bb.2:
	s_load_dwordx2 s[4:5], s[0:1], 0x18
	v_mov_b32_e32 v0, s10
	v_mov_b32_e32 v1, s11
	s_waitcnt lgkmcnt(0)
	s_load_dwordx4 s[4:7], s[4:5], 0x0
	s_waitcnt lgkmcnt(0)
	v_mad_u64_u32 v[2:3], s[10:11], s6, v4, 0
	v_mad_u64_u32 v[6:7], s[10:11], s4, v20, 0
	v_mov_b32_e32 v8, v3
	v_mov_b32_e32 v10, v7
	v_mad_u64_u32 v[8:9], s[6:7], s7, v4, v[8:9]
	v_mov_b32_e32 v3, v8
	v_mad_u64_u32 v[8:9], s[6:7], s5, v20, v[10:11]
	v_mov_b32_e32 v7, v8
	v_lshl_add_u64 v[0:1], v[2:3], 2, v[0:1]
	v_lshl_add_u64 v[0:1], v[6:7], 2, v[0:1]
	global_load_dword v2, v[0:1], off
	v_mov_b32_e32 v3, 0x48
	global_load_dword v6, v5, s[12:13]
	v_mad_u64_u32 v[0:1], s[6:7], s4, v3, v[0:1]
	s_mul_i32 s10, s5, 0x48
	v_add_u32_e32 v1, s10, v1
	global_load_dword v7, v[0:1], off
	global_load_dword v8, v5, s[12:13] offset:72
	v_mad_u64_u32 v[0:1], s[6:7], s4, v3, v[0:1]
	v_add_u32_e32 v1, s10, v1
	global_load_dword v9, v[0:1], off
	global_load_dword v10, v5, s[12:13] offset:144
	v_mad_u64_u32 v[0:1], s[6:7], s4, v3, v[0:1]
	;; [unrolled: 4-line block ×8, first 2 shown]
	v_add_u32_e32 v1, s10, v1
	global_load_dword v3, v[0:1], off
	global_load_dword v26, v5, s[12:13] offset:648
	v_lshl_add_u32 v0, v20, 2, v22
	v_add_u32_e32 v1, v22, v5
	s_waitcnt vmcnt(19)
	v_lshrrev_b32_e32 v27, 16, v2
	s_waitcnt vmcnt(18)
	v_mul_f16_sdwa v28, v6, v2 dst_sel:DWORD dst_unused:UNUSED_PAD src0_sel:WORD_1 src1_sel:DWORD
	v_mul_f16_sdwa v29, v6, v27 dst_sel:DWORD dst_unused:UNUSED_PAD src0_sel:WORD_1 src1_sel:DWORD
	v_fma_f16 v27, v6, v27, -v28
	v_fma_f16 v2, v6, v2, v29
	s_waitcnt vmcnt(17)
	v_lshrrev_b32_e32 v6, 16, v7
	s_waitcnt vmcnt(16)
	v_mul_f16_sdwa v28, v8, v7 dst_sel:DWORD dst_unused:UNUSED_PAD src0_sel:WORD_1 src1_sel:DWORD
	v_pack_b32_f16 v2, v2, v27
	v_mul_f16_sdwa v27, v8, v6 dst_sel:DWORD dst_unused:UNUSED_PAD src0_sel:WORD_1 src1_sel:DWORD
	v_fma_f16 v6, v8, v6, -v28
	ds_write_b32 v0, v2
	v_fma_f16 v0, v8, v7, v27
	s_waitcnt vmcnt(15)
	v_lshrrev_b32_e32 v2, 16, v9
	s_waitcnt vmcnt(14)
	v_mul_f16_sdwa v7, v10, v9 dst_sel:DWORD dst_unused:UNUSED_PAD src0_sel:WORD_1 src1_sel:DWORD
	v_pack_b32_f16 v0, v0, v6
	v_mul_f16_sdwa v6, v10, v2 dst_sel:DWORD dst_unused:UNUSED_PAD src0_sel:WORD_1 src1_sel:DWORD
	v_fma_f16 v2, v10, v2, -v7
	v_fma_f16 v6, v10, v9, v6
	s_waitcnt vmcnt(13)
	v_lshrrev_b32_e32 v7, 16, v11
	s_waitcnt vmcnt(12)
	v_mul_f16_sdwa v8, v12, v11 dst_sel:DWORD dst_unused:UNUSED_PAD src0_sel:WORD_1 src1_sel:DWORD
	v_pack_b32_f16 v2, v6, v2
	v_mul_f16_sdwa v6, v12, v7 dst_sel:DWORD dst_unused:UNUSED_PAD src0_sel:WORD_1 src1_sel:DWORD
	v_fma_f16 v7, v12, v7, -v8
	ds_write2_b32 v1, v0, v2 offset0:18 offset1:36
	v_fma_f16 v0, v12, v11, v6
	s_waitcnt vmcnt(11)
	v_lshrrev_b32_e32 v2, 16, v13
	s_waitcnt vmcnt(10)
	v_mul_f16_sdwa v6, v14, v13 dst_sel:DWORD dst_unused:UNUSED_PAD src0_sel:WORD_1 src1_sel:DWORD
	v_pack_b32_f16 v0, v0, v7
	v_mul_f16_sdwa v7, v14, v2 dst_sel:DWORD dst_unused:UNUSED_PAD src0_sel:WORD_1 src1_sel:DWORD
	v_fma_f16 v2, v14, v2, -v6
	v_fma_f16 v6, v14, v13, v7
	s_waitcnt vmcnt(9)
	v_lshrrev_b32_e32 v7, 16, v15
	s_waitcnt vmcnt(8)
	v_mul_f16_sdwa v8, v16, v15 dst_sel:DWORD dst_unused:UNUSED_PAD src0_sel:WORD_1 src1_sel:DWORD
	v_pack_b32_f16 v2, v6, v2
	v_mul_f16_sdwa v6, v16, v7 dst_sel:DWORD dst_unused:UNUSED_PAD src0_sel:WORD_1 src1_sel:DWORD
	v_fma_f16 v7, v16, v7, -v8
	ds_write2_b32 v1, v0, v2 offset0:54 offset1:72
	v_fma_f16 v0, v16, v15, v6
	s_waitcnt vmcnt(7)
	v_lshrrev_b32_e32 v2, 16, v17
	v_pack_b32_f16 v0, v0, v7
	s_waitcnt vmcnt(6)
	v_mul_f16_sdwa v6, v18, v2 dst_sel:DWORD dst_unused:UNUSED_PAD src0_sel:WORD_1 src1_sel:DWORD
	v_mul_f16_sdwa v7, v18, v17 dst_sel:DWORD dst_unused:UNUSED_PAD src0_sel:WORD_1 src1_sel:DWORD
	v_fma_f16 v6, v18, v17, v6
	v_fma_f16 v2, v18, v2, -v7
	v_pack_b32_f16 v2, v6, v2
	ds_write2_b32 v1, v0, v2 offset0:90 offset1:108
	s_waitcnt vmcnt(5)
	v_lshrrev_b32_e32 v0, 16, v19
	s_waitcnt vmcnt(4)
	v_mul_f16_sdwa v2, v23, v0 dst_sel:DWORD dst_unused:UNUSED_PAD src0_sel:WORD_1 src1_sel:DWORD
	v_mul_f16_sdwa v6, v23, v19 dst_sel:DWORD dst_unused:UNUSED_PAD src0_sel:WORD_1 src1_sel:DWORD
	v_fma_f16 v2, v23, v19, v2
	v_fma_f16 v0, v23, v0, -v6
	v_pack_b32_f16 v0, v2, v0
	s_waitcnt vmcnt(3)
	v_lshrrev_b32_e32 v2, 16, v24
	s_waitcnt vmcnt(2)
	v_mul_f16_sdwa v6, v25, v2 dst_sel:DWORD dst_unused:UNUSED_PAD src0_sel:WORD_1 src1_sel:DWORD
	v_mul_f16_sdwa v7, v25, v24 dst_sel:DWORD dst_unused:UNUSED_PAD src0_sel:WORD_1 src1_sel:DWORD
	v_fma_f16 v6, v25, v24, v6
	v_fma_f16 v2, v25, v2, -v7
	v_pack_b32_f16 v2, v6, v2
	ds_write2_b32 v1, v0, v2 offset0:126 offset1:144
	s_waitcnt vmcnt(1)
	v_lshrrev_b32_e32 v0, 16, v3
	s_waitcnt vmcnt(0)
	v_mul_f16_sdwa v2, v26, v0 dst_sel:DWORD dst_unused:UNUSED_PAD src0_sel:WORD_1 src1_sel:DWORD
	v_fma_f16 v2, v26, v3, v2
	v_mul_f16_sdwa v3, v26, v3 dst_sel:DWORD dst_unused:UNUSED_PAD src0_sel:WORD_1 src1_sel:DWORD
	v_fma_f16 v0, v26, v0, -v3
	v_pack_b32_f16 v0, v2, v0
	ds_write_b32 v1, v0 offset:648
.LBB0_3:
	s_or_b64 exec, exec, s[8:9]
	s_waitcnt lgkmcnt(0)
	s_barrier
	s_waitcnt lgkmcnt(0)
                                        ; implicit-def: $vgpr10
                                        ; implicit-def: $vgpr0
                                        ; implicit-def: $vgpr2
                                        ; implicit-def: $vgpr6
                                        ; implicit-def: $vgpr8
	s_and_saveexec_b64 s[4:5], vcc
	s_cbranch_execz .LBB0_5
; %bb.4:
	v_lshl_add_u32 v8, v21, 2, v5
	ds_read2_b32 v[10:11], v8 offset1:18
	ds_read2_b32 v[0:1], v8 offset0:36 offset1:54
	ds_read2_b32 v[2:3], v8 offset0:72 offset1:90
	;; [unrolled: 1-line block ×4, first 2 shown]
.LBB0_5:
	s_or_b64 exec, exec, s[4:5]
	s_waitcnt lgkmcnt(1)
	v_add_f16_e32 v13, v2, v6
	v_fma_f16 v13, v13, -0.5, v10
	s_waitcnt lgkmcnt(0)
	v_sub_f16_sdwa v14, v0, v8 dst_sel:DWORD dst_unused:UNUSED_PAD src0_sel:WORD_1 src1_sel:WORD_1
	s_movk_i32 s6, 0x3b9c
	s_mov_b32 s9, 0xbb9c
	v_fma_f16 v15, v14, s6, v13
	v_sub_f16_sdwa v16, v2, v6 dst_sel:DWORD dst_unused:UNUSED_PAD src0_sel:WORD_1 src1_sel:WORD_1
	s_movk_i32 s7, 0x38b4
	v_sub_f16_e32 v17, v8, v6
	v_sub_f16_e32 v18, v0, v2
	v_fma_f16 v13, v14, s9, v13
	s_mov_b32 s10, 0xb8b4
	v_fma_f16 v15, v16, s7, v15
	v_add_f16_e32 v17, v18, v17
	s_movk_i32 s8, 0x34f2
	v_fma_f16 v13, v16, s10, v13
	v_fma_f16 v15, v17, s8, v15
	;; [unrolled: 1-line block ×3, first 2 shown]
	v_add_f16_e32 v13, v0, v8
	v_fma_f16 v13, v13, -0.5, v10
	v_fma_f16 v18, v16, s9, v13
	v_sub_f16_e32 v19, v6, v8
	v_sub_f16_e32 v23, v2, v0
	v_fma_f16 v13, v16, s6, v13
	v_fma_f16 v18, v14, s7, v18
	v_add_f16_e32 v19, v23, v19
	v_fma_f16 v13, v14, s10, v13
	v_pk_add_f16 v12, v10, v0
	v_fma_f16 v18, v19, s8, v18
	v_fma_f16 v19, v19, s8, v13
	v_add_f16_sdwa v13, v2, v6 dst_sel:DWORD dst_unused:UNUSED_PAD src0_sel:WORD_1 src1_sel:WORD_1
	v_lshrrev_b32_e32 v10, 16, v10
	v_fma_f16 v13, v13, -0.5, v10
	v_sub_f16_e32 v14, v0, v8
	v_fma_f16 v16, v14, s9, v13
	v_sub_f16_e32 v23, v2, v6
	v_sub_f16_sdwa v24, v0, v2 dst_sel:DWORD dst_unused:UNUSED_PAD src0_sel:WORD_1 src1_sel:WORD_1
	v_sub_f16_sdwa v25, v8, v6 dst_sel:DWORD dst_unused:UNUSED_PAD src0_sel:WORD_1 src1_sel:WORD_1
	v_fma_f16 v13, v14, s6, v13
	v_fma_f16 v16, v23, s10, v16
	v_add_f16_e32 v24, v24, v25
	v_fma_f16 v13, v23, s7, v13
	v_fma_f16 v25, v24, s8, v16
	;; [unrolled: 1-line block ×3, first 2 shown]
	v_add_f16_sdwa v13, v0, v8 dst_sel:DWORD dst_unused:UNUSED_PAD src0_sel:WORD_1 src1_sel:WORD_1
	v_fma_f16 v10, v13, -0.5, v10
	v_fma_f16 v13, v23, s6, v10
	v_sub_f16_sdwa v0, v2, v0 dst_sel:DWORD dst_unused:UNUSED_PAD src0_sel:WORD_1 src1_sel:WORD_1
	v_sub_f16_sdwa v16, v6, v8 dst_sel:DWORD dst_unused:UNUSED_PAD src0_sel:WORD_1 src1_sel:WORD_1
	v_fma_f16 v13, v14, s10, v13
	v_add_f16_e32 v0, v0, v16
	v_fma_f16 v27, v0, s8, v13
	v_fma_f16 v10, v23, s9, v10
	v_add_f16_e32 v13, v3, v7
	v_fma_f16 v10, v14, s7, v10
	v_fma_f16 v13, v13, -0.5, v11
	v_sub_f16_sdwa v14, v1, v9 dst_sel:DWORD dst_unused:UNUSED_PAD src0_sel:WORD_1 src1_sel:WORD_1
	v_fma_f16 v16, v14, s6, v13
	v_sub_f16_sdwa v23, v3, v7 dst_sel:DWORD dst_unused:UNUSED_PAD src0_sel:WORD_1 src1_sel:WORD_1
	v_sub_f16_e32 v26, v9, v7
	v_sub_f16_e32 v28, v1, v3
	v_fma_f16 v13, v14, s9, v13
	v_add_f16_e32 v26, v28, v26
	v_fma_f16 v13, v23, s10, v13
	v_fma_f16 v29, v26, s8, v13
	v_add_f16_e32 v13, v1, v9
	v_pk_add_f16 v2, v12, v2
	v_fma_f16 v0, v0, s8, v10
	v_pk_add_f16 v10, v11, v1
	v_fma_f16 v16, v23, s7, v16
	v_fma_f16 v13, v13, -0.5, v11
	v_pk_add_f16 v2, v2, v6
	v_fma_f16 v28, v26, s8, v16
	v_fma_f16 v16, v23, s9, v13
	v_sub_f16_e32 v26, v7, v9
	v_sub_f16_e32 v30, v3, v1
	v_fma_f16 v13, v23, s6, v13
	v_pk_add_f16 v2, v2, v8
	v_pk_add_f16 v6, v10, v3
	v_add_f16_sdwa v8, v3, v7 dst_sel:DWORD dst_unused:UNUSED_PAD src0_sel:WORD_1 src1_sel:WORD_1
	v_lshrrev_b32_e32 v10, 16, v11
	v_fma_f16 v16, v14, s7, v16
	v_add_f16_e32 v26, v30, v26
	v_fma_f16 v13, v14, s10, v13
	v_fma_f16 v8, v8, -0.5, v10
	v_sub_f16_e32 v11, v1, v9
	v_fma_f16 v30, v26, s8, v16
	v_fma_f16 v23, v26, s8, v13
	;; [unrolled: 1-line block ×3, first 2 shown]
	v_sub_f16_e32 v13, v3, v7
	v_sub_f16_sdwa v14, v1, v3 dst_sel:DWORD dst_unused:UNUSED_PAD src0_sel:WORD_1 src1_sel:WORD_1
	v_sub_f16_sdwa v16, v9, v7 dst_sel:DWORD dst_unused:UNUSED_PAD src0_sel:WORD_1 src1_sel:WORD_1
	v_fma_f16 v12, v13, s10, v12
	v_add_f16_e32 v14, v14, v16
	v_fma_f16 v26, v14, s8, v12
	v_add_f16_sdwa v12, v1, v9 dst_sel:DWORD dst_unused:UNUSED_PAD src0_sel:WORD_1 src1_sel:WORD_1
	v_fma_f16 v10, v12, -0.5, v10
	v_fma_f16 v12, v13, s6, v10
	v_sub_f16_sdwa v1, v3, v1 dst_sel:DWORD dst_unused:UNUSED_PAD src0_sel:WORD_1 src1_sel:WORD_1
	v_sub_f16_sdwa v3, v7, v9 dst_sel:DWORD dst_unused:UNUSED_PAD src0_sel:WORD_1 src1_sel:WORD_1
	v_pk_add_f16 v6, v6, v7
	v_fma_f16 v8, v11, s6, v8
	v_fma_f16 v12, v11, s10, v12
	v_add_f16_e32 v1, v1, v3
	v_fma_f16 v7, v13, s9, v10
	s_load_dwordx2 s[4:5], s[0:1], 0x8
	v_fma_f16 v8, v13, s7, v8
	v_fma_f16 v3, v1, s8, v12
	;; [unrolled: 1-line block ×5, first 2 shown]
	v_mul_f16_e32 v10, 0x3b9c, v3
	v_mul_f16_e32 v11, 0x34f2, v23
	;; [unrolled: 1-line block ×3, first 2 shown]
	s_movk_i32 s11, 0x3a79
	v_mul_f16_e32 v7, 0x3a79, v28
	v_fma_f16 v10, v30, s8, v10
	v_fma_f16 v11, v1, s6, -v11
	v_fma_f16 v34, v8, s7, -v14
	v_mul_f16_e32 v28, 0xb8b4, v28
	v_mul_f16_e32 v30, 0xbb9c, v30
	;; [unrolled: 1-line block ×4, first 2 shown]
	v_pk_add_f16 v6, v6, v9
	v_fma_f16 v9, v26, s7, v7
	v_fma_f16 v28, v26, s11, v28
	;; [unrolled: 1-line block ×3, first 2 shown]
	v_fma_f16 v1, v23, s9, -v1
	v_fma_f16 v23, v29, s10, -v8
	v_add_f16_e32 v7, v15, v9
	v_add_f16_e32 v12, v18, v10
	;; [unrolled: 1-line block ×4, first 2 shown]
	v_pk_add_f16 v16, v2, v6
	v_add_f16_e32 v26, v25, v28
	v_add_f16_e32 v31, v27, v3
	;; [unrolled: 1-line block ×4, first 2 shown]
	v_sub_f16_e32 v8, v15, v9
	v_sub_f16_e32 v9, v18, v10
	;; [unrolled: 1-line block ×4, first 2 shown]
	v_pk_add_f16 v19, v2, v6 neg_lo:[0,1] neg_hi:[0,1]
	v_sub_f16_e32 v29, v25, v28
	v_sub_f16_e32 v27, v27, v3
	;; [unrolled: 1-line block ×4, first 2 shown]
	v_mul_lo_u16_e32 v25, 10, v20
	s_waitcnt lgkmcnt(0)
	s_barrier
	s_and_saveexec_b64 s[6:7], vcc
	s_cbranch_execz .LBB0_7
; %bb.6:
	s_mov_b32 s8, 0x5040100
	v_add_lshl_u32 v2, v21, v25, 2
	v_perm_b32 v1, v32, v13, s8
	v_perm_b32 v0, v31, v12, s8
	;; [unrolled: 1-line block ×3, first 2 shown]
	ds_write2_b64 v2, v[16:17], v[0:1] offset1:1
	v_perm_b32 v1, v27, v9, s8
	v_perm_b32 v0, v29, v8, s8
	;; [unrolled: 1-line block ×3, first 2 shown]
	ds_write2_b64 v2, v[18:19], v[0:1] offset0:2 offset1:3
	v_perm_b32 v1, v28, v11, s8
	v_perm_b32 v0, v30, v10, s8
	ds_write_b64 v2, v[0:1] offset:32
.LBB0_7:
	s_or_b64 exec, exec, s[6:7]
	s_load_dwordx2 s[6:7], s[0:1], 0x20
	v_cmp_gt_u16_e64 s[0:1], 30, v20
	v_add_lshl_u32 v18, v21, v20, 2
	s_waitcnt lgkmcnt(0)
	s_barrier
	s_and_saveexec_b64 s[8:9], s[0:1]
	s_cbranch_execz .LBB0_9
; %bb.8:
	ds_read2_b32 v[6:7], v18 offset1:30
	ds_read2_b32 v[12:13], v18 offset0:60 offset1:90
	ds_read2_b32 v[14:15], v18 offset0:120 offset1:150
	s_waitcnt lgkmcnt(2)
	v_lshrrev_b32_e32 v26, 16, v7
	s_waitcnt lgkmcnt(1)
	v_lshrrev_b32_e32 v31, 16, v12
	v_lshrrev_b32_e32 v32, 16, v13
	s_waitcnt lgkmcnt(0)
	v_lshrrev_b32_e32 v33, 16, v14
	v_mov_b32_e32 v16, v6
	v_mov_b32_e32 v19, v15
.LBB0_9:
	s_or_b64 exec, exec, s[8:9]
	s_movk_i32 s8, 0xcd
	v_mul_lo_u16_sdwa v0, v20, s8 dst_sel:DWORD dst_unused:UNUSED_PAD src0_sel:BYTE_0 src1_sel:DWORD
	v_lshrrev_b16_e32 v40, 11, v0
	v_mul_lo_u16_e32 v0, 10, v40
	v_sub_u16_e32 v0, v20, v0
	v_and_b32_e32 v23, 0xff, v0
	v_mad_u64_u32 v[34:35], s[8:9], v23, 20, s[4:5]
	global_load_dwordx4 v[0:3], v[34:35], off
	global_load_dword v24, v[34:35], off offset:16
	v_lshrrev_b32_e32 v6, 16, v19
	v_lshrrev_b32_e32 v15, 16, v16
	s_movk_i32 s14, 0x3aee
	s_mov_b32 s15, 0xbaee
	s_barrier
	s_waitcnt vmcnt(1)
	v_mul_f16_sdwa v17, v26, v0 dst_sel:DWORD dst_unused:UNUSED_PAD src0_sel:DWORD src1_sel:WORD_1
	v_mul_f16_sdwa v34, v7, v0 dst_sel:DWORD dst_unused:UNUSED_PAD src0_sel:DWORD src1_sel:WORD_1
	;; [unrolled: 1-line block ×8, first 2 shown]
	s_waitcnt vmcnt(0)
	v_mul_f16_sdwa v42, v6, v24 dst_sel:DWORD dst_unused:UNUSED_PAD src0_sel:DWORD src1_sel:WORD_1
	v_mul_f16_sdwa v43, v19, v24 dst_sel:DWORD dst_unused:UNUSED_PAD src0_sel:DWORD src1_sel:WORD_1
	v_fma_f16 v17, v7, v0, -v17
	v_fma_f16 v26, v26, v0, v34
	v_fma_f16 v7, v12, v1, -v35
	v_fma_f16 v12, v31, v1, v36
	;; [unrolled: 2-line block ×5, first 2 shown]
	v_add_f16_e32 v6, v16, v7
	v_add_f16_e32 v34, v7, v14
	;; [unrolled: 1-line block ×5, first 2 shown]
	v_sub_f16_e32 v41, v31, v33
	v_add_f16_e32 v42, v26, v31
	v_add_f16_e32 v31, v31, v33
	v_sub_f16_e32 v35, v12, v32
	v_sub_f16_e32 v38, v7, v14
	v_add_f16_e32 v7, v17, v13
	v_sub_f16_e32 v13, v13, v19
	v_add_f16_e32 v6, v6, v14
	v_fma_f16 v14, v34, -0.5, v16
	v_add_f16_e32 v12, v36, v32
	v_fma_f16 v15, v37, -0.5, v15
	v_fma_f16 v32, v39, -0.5, v17
	;; [unrolled: 1-line block ×3, first 2 shown]
	v_add_f16_e32 v7, v7, v19
	v_fma_f16 v16, v35, s14, v14
	v_fma_f16 v19, v35, s15, v14
	;; [unrolled: 1-line block ×8, first 2 shown]
	v_add_f16_e32 v17, v42, v33
	v_mul_f16_e32 v33, 0x3aee, v32
	v_mul_f16_e32 v37, -0.5, v15
	v_mul_f16_e32 v38, 0xbaee, v14
	v_mul_f16_e32 v39, -0.5, v26
	v_fma_f16 v36, v14, 0.5, v33
	v_fma_f16 v37, v26, s14, v37
	v_fma_f16 v38, v32, 0.5, v38
	v_fma_f16 v39, v15, s15, v39
	v_sub_f16_e32 v13, v6, v7
	v_sub_f16_e32 v31, v12, v17
	;; [unrolled: 1-line block ×6, first 2 shown]
	v_mul_lo_u16_e32 v26, 60, v40
	s_and_saveexec_b64 s[8:9], s[0:1]
	s_cbranch_execz .LBB0_11
; %bb.10:
	v_add_f16_e32 v6, v6, v7
	v_and_b32_e32 v7, 0xfc, v26
	v_add_f16_e32 v34, v34, v38
	v_add_f16_e32 v12, v12, v17
	;; [unrolled: 1-line block ×3, first 2 shown]
	v_add_u32_e32 v7, v7, v23
	v_add_f16_e32 v35, v35, v39
	v_add_f16_e32 v17, v19, v37
	v_add_lshl_u32 v7, v21, v7, 2
	v_pack_b32_f16 v6, v6, v12
	v_pack_b32_f16 v12, v16, v34
	s_mov_b32 s10, 0x5040100
	ds_write2_b32 v7, v6, v12 offset1:10
	v_pack_b32_f16 v6, v17, v35
	v_perm_b32 v12, v31, v13, s10
	ds_write2_b32 v7, v6, v12 offset0:20 offset1:30
	v_perm_b32 v6, v33, v14, s10
	v_perm_b32 v12, v32, v15, s10
	ds_write2_b32 v7, v6, v12 offset0:40 offset1:50
.LBB0_11:
	s_or_b64 exec, exec, s[8:9]
	v_lshlrev_b32_e32 v6, 3, v20
	s_load_dwordx4 s[8:11], s[6:7], 0x0
	s_waitcnt lgkmcnt(0)
	s_barrier
	global_load_dwordx2 v[6:7], v6, s[4:5] offset:200
	ds_read2_b32 v[34:35], v18 offset1:60
	ds_read_b32 v12, v18 offset:480
	v_lshl_add_u32 v19, v20, 2, v22
	s_waitcnt lgkmcnt(1)
	v_lshrrev_b32_e32 v16, 16, v35
	s_waitcnt lgkmcnt(0)
	v_lshrrev_b32_e32 v36, 16, v12
	v_lshrrev_b32_e32 v17, 16, v34
	s_waitcnt vmcnt(0)
	v_mul_f16_sdwa v37, v16, v6 dst_sel:DWORD dst_unused:UNUSED_PAD src0_sel:DWORD src1_sel:WORD_1
	v_mul_f16_sdwa v38, v35, v6 dst_sel:DWORD dst_unused:UNUSED_PAD src0_sel:DWORD src1_sel:WORD_1
	v_mul_f16_sdwa v39, v36, v7 dst_sel:DWORD dst_unused:UNUSED_PAD src0_sel:DWORD src1_sel:WORD_1
	v_mul_f16_sdwa v40, v12, v7 dst_sel:DWORD dst_unused:UNUSED_PAD src0_sel:DWORD src1_sel:WORD_1
	v_fma_f16 v35, v35, v6, -v37
	v_fma_f16 v16, v16, v6, v38
	v_fma_f16 v12, v12, v7, -v39
	v_fma_f16 v36, v36, v7, v40
	v_add_f16_e32 v37, v34, v35
	v_add_f16_e32 v38, v35, v12
	;; [unrolled: 1-line block ×4, first 2 shown]
	v_sub_f16_e32 v39, v16, v36
	v_sub_f16_e32 v42, v35, v12
	v_add_f16_e32 v16, v37, v12
	v_fma_f16 v12, v38, -0.5, v34
	v_add_f16_e32 v35, v40, v36
	v_fma_f16 v36, v41, -0.5, v17
	v_fma_f16 v17, v39, s14, v12
	v_fma_f16 v34, v42, s15, v36
	;; [unrolled: 1-line block ×4, first 2 shown]
	v_pack_b32_f16 v37, v16, v35
	v_pack_b32_f16 v38, v17, v34
	;; [unrolled: 1-line block ×3, first 2 shown]
	ds_write2_b32 v19, v37, v38 offset1:60
	ds_write_b32 v19, v39 offset:480
	s_waitcnt lgkmcnt(0)
	s_barrier
	s_and_saveexec_b64 s[4:5], vcc
	s_cbranch_execz .LBB0_13
; %bb.12:
	global_load_dword v37, v5, s[12:13] offset:720
	s_add_u32 s6, s12, 0x2d0
	s_addc_u32 s7, s13, 0
	global_load_dword v48, v5, s[6:7] offset:72
	global_load_dword v49, v5, s[6:7] offset:144
	global_load_dword v50, v5, s[6:7] offset:216
	global_load_dword v51, v5, s[6:7] offset:288
	global_load_dword v52, v5, s[6:7] offset:360
	global_load_dword v53, v5, s[6:7] offset:432
	global_load_dword v54, v5, s[6:7] offset:504
	global_load_dword v55, v5, s[6:7] offset:576
	global_load_dword v56, v5, s[6:7] offset:648
	ds_read2_b32 v[38:39], v19 offset1:18
	ds_read2_b32 v[40:41], v19 offset0:36 offset1:54
	ds_read2_b32 v[42:43], v19 offset0:72 offset1:90
	;; [unrolled: 1-line block ×4, first 2 shown]
	s_waitcnt lgkmcnt(4)
	v_lshrrev_b32_e32 v57, 16, v38
	v_lshrrev_b32_e32 v58, 16, v39
	s_waitcnt lgkmcnt(3)
	v_lshrrev_b32_e32 v59, 16, v40
	v_lshrrev_b32_e32 v60, 16, v41
	;; [unrolled: 3-line block ×5, first 2 shown]
	s_waitcnt vmcnt(6)
	v_mul_f16_sdwa v69, v60, v50 dst_sel:DWORD dst_unused:UNUSED_PAD src0_sel:DWORD src1_sel:WORD_1
	v_mul_f16_sdwa v70, v41, v50 dst_sel:DWORD dst_unused:UNUSED_PAD src0_sel:DWORD src1_sel:WORD_1
	s_waitcnt vmcnt(5)
	v_mul_f16_sdwa v71, v61, v51 dst_sel:DWORD dst_unused:UNUSED_PAD src0_sel:DWORD src1_sel:WORD_1
	v_mul_f16_sdwa v67, v57, v37 dst_sel:DWORD dst_unused:UNUSED_PAD src0_sel:DWORD src1_sel:WORD_1
	;; [unrolled: 1-line block ×3, first 2 shown]
	v_fma_f16 v38, v38, v37, -v67
	v_fma_f16 v37, v57, v37, v68
	v_pack_b32_f16 v37, v38, v37
	v_mul_f16_sdwa v38, v58, v48 dst_sel:DWORD dst_unused:UNUSED_PAD src0_sel:DWORD src1_sel:WORD_1
	v_mul_f16_sdwa v57, v39, v48 dst_sel:DWORD dst_unused:UNUSED_PAD src0_sel:DWORD src1_sel:WORD_1
	;; [unrolled: 1-line block ×5, first 2 shown]
	s_waitcnt vmcnt(4)
	v_mul_f16_sdwa v73, v62, v52 dst_sel:DWORD dst_unused:UNUSED_PAD src0_sel:DWORD src1_sel:WORD_1
	v_mul_f16_sdwa v74, v43, v52 dst_sel:DWORD dst_unused:UNUSED_PAD src0_sel:DWORD src1_sel:WORD_1
	s_waitcnt vmcnt(3)
	v_mul_f16_sdwa v75, v63, v53 dst_sel:DWORD dst_unused:UNUSED_PAD src0_sel:DWORD src1_sel:WORD_1
	v_mul_f16_sdwa v76, v44, v53 dst_sel:DWORD dst_unused:UNUSED_PAD src0_sel:DWORD src1_sel:WORD_1
	;; [unrolled: 3-line block ×5, first 2 shown]
	v_fma_f16 v38, v39, v48, -v38
	v_fma_f16 v39, v58, v48, v57
	v_fma_f16 v40, v40, v49, -v67
	v_fma_f16 v48, v59, v49, v68
	v_fma_f16 v41, v41, v50, -v69
	v_fma_f16 v49, v60, v50, v70
	v_fma_f16 v42, v42, v51, -v71
	v_fma_f16 v50, v61, v51, v72
	v_fma_f16 v43, v43, v52, -v73
	v_fma_f16 v51, v62, v52, v74
	v_fma_f16 v44, v44, v53, -v75
	v_fma_f16 v52, v63, v53, v76
	v_fma_f16 v45, v45, v54, -v77
	v_fma_f16 v53, v64, v54, v78
	v_fma_f16 v46, v46, v55, -v79
	v_fma_f16 v54, v65, v55, v80
	v_fma_f16 v47, v47, v56, -v81
	v_fma_f16 v55, v66, v56, v82
	v_pack_b32_f16 v38, v38, v39
	v_pack_b32_f16 v39, v40, v48
	;; [unrolled: 1-line block ×9, first 2 shown]
	ds_write2_b32 v19, v37, v38 offset1:18
	ds_write2_b32 v19, v39, v40 offset0:36 offset1:54
	ds_write2_b32 v19, v41, v42 offset0:72 offset1:90
	;; [unrolled: 1-line block ×4, first 2 shown]
.LBB0_13:
	s_or_b64 exec, exec, s[4:5]
	s_waitcnt lgkmcnt(0)
	s_barrier
	s_and_saveexec_b64 s[4:5], vcc
	s_cbranch_execz .LBB0_15
; %bb.14:
	ds_read2_b32 v[16:17], v19 offset1:18
	ds_read2_b32 v[12:13], v19 offset0:36 offset1:54
	ds_read2_b32 v[14:15], v19 offset0:72 offset1:90
	;; [unrolled: 1-line block ×4, first 2 shown]
	s_waitcnt lgkmcnt(4)
	v_lshrrev_b32_e32 v35, 16, v16
	v_lshrrev_b32_e32 v34, 16, v17
	s_waitcnt lgkmcnt(3)
	v_lshrrev_b32_e32 v36, 16, v12
	v_lshrrev_b32_e32 v31, 16, v13
	;; [unrolled: 3-line block ×5, first 2 shown]
.LBB0_15:
	s_or_b64 exec, exec, s[4:5]
	v_add_f16_e32 v37, v16, v12
	v_add_f16_e32 v37, v37, v14
	;; [unrolled: 1-line block ×5, first 2 shown]
	v_fma_f16 v38, v37, -0.5, v16
	v_sub_f16_e32 v39, v36, v30
	s_mov_b32 s4, 0xbb9c
	s_movk_i32 s7, 0x3b9c
	v_fma_f16 v37, v39, s4, v38
	v_sub_f16_e32 v40, v33, v29
	s_mov_b32 s5, 0xb8b4
	v_sub_f16_e32 v41, v12, v14
	v_sub_f16_e32 v42, v10, v8
	v_fma_f16 v38, v39, s7, v38
	s_movk_i32 s14, 0x38b4
	v_fma_f16 v37, v40, s5, v37
	v_add_f16_e32 v41, v41, v42
	s_movk_i32 s6, 0x34f2
	v_fma_f16 v38, v40, s14, v38
	v_fma_f16 v37, v41, s6, v37
	v_fma_f16 v38, v41, s6, v38
	v_add_f16_e32 v41, v12, v10
	v_fma_f16 v41, v41, -0.5, v16
	v_fma_f16 v16, v40, s7, v41
	v_fma_f16 v40, v40, s4, v41
	;; [unrolled: 1-line block ×4, first 2 shown]
	v_add_f16_e32 v40, v35, v36
	v_add_f16_e32 v40, v40, v33
	v_add_f16_e32 v40, v40, v29
	v_add_f16_e32 v46, v40, v30
	v_add_f16_e32 v40, v33, v29
	v_sub_f16_e32 v43, v8, v10
	v_fma_f16 v41, v40, -0.5, v35
	v_sub_f16_e32 v10, v12, v10
	v_sub_f16_e32 v42, v14, v12
	v_fma_f16 v12, v10, s7, v41
	v_sub_f16_e32 v8, v14, v8
	v_sub_f16_e32 v14, v36, v33
	;; [unrolled: 1-line block ×3, first 2 shown]
	v_fma_f16 v12, v8, s14, v12
	v_add_f16_e32 v14, v14, v40
	v_fma_f16 v40, v14, s6, v12
	v_fma_f16 v12, v10, s4, v41
	;; [unrolled: 1-line block ×4, first 2 shown]
	v_add_f16_e32 v12, v36, v30
	v_fma_f16 v12, v12, -0.5, v35
	v_fma_f16 v14, v8, s4, v12
	v_sub_f16_e32 v33, v33, v36
	v_sub_f16_e32 v29, v29, v30
	v_fma_f16 v8, v8, s7, v12
	v_add_f16_e32 v29, v33, v29
	v_fma_f16 v8, v10, s5, v8
	v_fma_f16 v33, v29, s6, v8
	v_add_f16_e32 v8, v17, v13
	v_add_f16_e32 v8, v8, v15
	v_add_f16_e32 v8, v8, v9
	v_add_f16_e32 v47, v8, v11
	v_add_f16_e32 v8, v15, v9
	v_fma_f16 v14, v10, s14, v14
	v_fma_f16 v8, v8, -0.5, v17
	v_sub_f16_e32 v10, v31, v28
	v_fma_f16 v30, v29, s6, v14
	v_fma_f16 v12, v10, s4, v8
	v_sub_f16_e32 v14, v32, v27
	v_sub_f16_e32 v29, v13, v15
	;; [unrolled: 1-line block ×3, first 2 shown]
	v_fma_f16 v8, v10, s7, v8
	v_fma_f16 v12, v14, s5, v12
	v_add_f16_e32 v29, v29, v35
	v_fma_f16 v8, v14, s14, v8
	v_fma_f16 v36, v29, s6, v12
	;; [unrolled: 1-line block ×3, first 2 shown]
	v_add_f16_e32 v8, v13, v11
	v_fma_f16 v8, v8, -0.5, v17
	v_fma_f16 v12, v14, s7, v8
	v_sub_f16_e32 v17, v15, v13
	v_sub_f16_e32 v35, v9, v11
	v_fma_f16 v8, v14, s4, v8
	v_add_f16_e32 v42, v42, v43
	v_fma_f16 v12, v10, s5, v12
	v_add_f16_e32 v17, v17, v35
	v_fma_f16 v8, v10, s14, v8
	v_fma_f16 v16, v42, s6, v16
	;; [unrolled: 1-line block ×5, first 2 shown]
	v_add_f16_e32 v8, v34, v31
	v_add_f16_e32 v8, v8, v32
	;; [unrolled: 1-line block ×5, first 2 shown]
	v_fma_f16 v8, v8, -0.5, v34
	v_sub_f16_e32 v10, v13, v11
	v_fma_f16 v11, v10, s7, v8
	v_sub_f16_e32 v9, v15, v9
	v_sub_f16_e32 v12, v31, v32
	;; [unrolled: 1-line block ×3, first 2 shown]
	v_fma_f16 v8, v10, s4, v8
	v_add_f16_e32 v12, v12, v13
	v_fma_f16 v8, v9, s5, v8
	v_fma_f16 v44, v12, s6, v8
	v_add_f16_e32 v8, v31, v28
	v_fma_f16 v11, v9, s14, v11
	v_fma_f16 v8, v8, -0.5, v34
	v_fma_f16 v13, v12, s6, v11
	v_fma_f16 v11, v9, s4, v8
	v_sub_f16_e32 v12, v32, v31
	v_sub_f16_e32 v14, v27, v28
	v_fma_f16 v11, v10, s14, v11
	v_add_f16_e32 v12, v12, v14
	v_fma_f16 v8, v9, s7, v8
	v_fma_f16 v27, v12, s6, v11
	;; [unrolled: 1-line block ×3, first 2 shown]
	v_mul_f16_e32 v9, 0xb8b4, v13
	s_movk_i32 s4, 0x3a79
	v_mul_f16_e32 v15, 0x38b4, v36
	v_fma_f16 v43, v12, s6, v8
	v_fma_f16 v31, v36, s4, v9
	v_mul_f16_e32 v10, 0xbb9c, v27
	v_fma_f16 v36, v13, s4, v15
	v_mul_f16_e32 v13, 0x34f2, v27
	;; [unrolled: 2-line block ×3, first 2 shown]
	s_mov_b32 s5, 0xb4f2
	v_fma_f16 v42, v42, s7, v13
	v_mul_f16_e32 v13, 0xb4f2, v43
	v_fma_f16 v34, v17, s5, v11
	v_mul_f16_e32 v12, 0xb8b4, v44
	s_mov_b32 s5, 0xba79
	v_fma_f16 v43, v17, s7, v13
	v_mul_f16_e32 v13, 0xba79, v44
	v_fma_f16 v35, v29, s5, v12
	v_fma_f16 v44, v29, s14, v13
	v_add_f16_e32 v8, v45, v47
	v_add_f16_e32 v9, v37, v31
	;; [unrolled: 1-line block ×10, first 2 shown]
	v_sub_f16_e32 v13, v45, v47
	v_sub_f16_e32 v27, v46, v48
	s_barrier
	s_and_saveexec_b64 s[4:5], vcc
	s_cbranch_execz .LBB0_17
; %bb.16:
	s_mov_b32 s6, 0x5040100
	v_sub_f16_e32 v43, v33, v43
	v_sub_f16_e32 v42, v30, v42
	;; [unrolled: 1-line block ×5, first 2 shown]
	v_lshl_add_u32 v25, v25, 2, v22
	v_perm_b32 v31, v17, v11, s6
	v_perm_b32 v30, v28, v10, s6
	;; [unrolled: 1-line block ×4, first 2 shown]
	v_sub_f16_e32 v41, v41, v44
	v_sub_f16_e32 v35, v38, v35
	;; [unrolled: 1-line block ×3, first 2 shown]
	ds_write2_b64 v25, v[32:33], v[30:31] offset1:1
	v_perm_b32 v31, v27, v13, s6
	v_perm_b32 v30, v29, v12, s6
	v_pack_b32_f16 v33, v16, v42
	v_pack_b32_f16 v32, v37, v36
	ds_write2_b64 v25, v[30:31], v[32:33] offset0:2 offset1:3
	v_pack_b32_f16 v31, v35, v41
	v_pack_b32_f16 v30, v34, v43
	ds_write_b64 v25, v[30:31] offset:32
.LBB0_17:
	s_or_b64 exec, exec, s[4:5]
	s_waitcnt lgkmcnt(0)
	s_barrier
	s_and_saveexec_b64 s[4:5], s[0:1]
	s_cbranch_execz .LBB0_19
; %bb.18:
	ds_read2_b32 v[8:9], v18 offset1:30
	ds_read2_b32 v[10:11], v18 offset0:60 offset1:90
	ds_read2_b32 v[12:13], v18 offset0:120 offset1:150
	s_waitcnt lgkmcnt(2)
	v_lshrrev_b32_e32 v14, 16, v8
	v_lshrrev_b32_e32 v15, 16, v9
	s_waitcnt lgkmcnt(1)
	v_lshrrev_b32_e32 v28, 16, v10
	v_lshrrev_b32_e32 v17, 16, v11
	;; [unrolled: 3-line block ×3, first 2 shown]
.LBB0_19:
	s_or_b64 exec, exec, s[4:5]
	s_barrier
	s_and_saveexec_b64 s[4:5], s[0:1]
	s_cbranch_execz .LBB0_21
; %bb.20:
	v_mul_f16_sdwa v16, v1, v10 dst_sel:DWORD dst_unused:UNUSED_PAD src0_sel:WORD_1 src1_sel:DWORD
	v_fma_f16 v16, v1, v28, -v16
	v_mul_f16_sdwa v25, v3, v12 dst_sel:DWORD dst_unused:UNUSED_PAD src0_sel:WORD_1 src1_sel:DWORD
	v_mul_f16_sdwa v28, v1, v28 dst_sel:DWORD dst_unused:UNUSED_PAD src0_sel:WORD_1 src1_sel:DWORD
	v_fma_f16 v25, v3, v29, -v25
	v_fma_f16 v1, v1, v10, v28
	v_mul_f16_sdwa v10, v3, v29 dst_sel:DWORD dst_unused:UNUSED_PAD src0_sel:WORD_1 src1_sel:DWORD
	v_mul_f16_sdwa v29, v2, v17 dst_sel:DWORD dst_unused:UNUSED_PAD src0_sel:WORD_1 src1_sel:DWORD
	v_fma_f16 v29, v2, v11, v29
	v_mul_f16_sdwa v11, v2, v11 dst_sel:DWORD dst_unused:UNUSED_PAD src0_sel:WORD_1 src1_sel:DWORD
	v_mul_f16_sdwa v28, v0, v15 dst_sel:DWORD dst_unused:UNUSED_PAD src0_sel:WORD_1 src1_sel:DWORD
	v_fma_f16 v2, v2, v17, -v11
	v_mul_f16_sdwa v11, v24, v13 dst_sel:DWORD dst_unused:UNUSED_PAD src0_sel:WORD_1 src1_sel:DWORD
	v_fma_f16 v28, v0, v9, v28
	v_fma_f16 v11, v24, v27, -v11
	v_mul_f16_sdwa v9, v0, v9 dst_sel:DWORD dst_unused:UNUSED_PAD src0_sel:WORD_1 src1_sel:DWORD
	v_mul_f16_sdwa v31, v24, v27 dst_sel:DWORD dst_unused:UNUSED_PAD src0_sel:WORD_1 src1_sel:DWORD
	v_fma_f16 v0, v0, v15, -v9
	v_add_f16_e32 v9, v2, v11
	v_fma_f16 v3, v3, v12, v10
	v_fma_f16 v31, v24, v13, v31
	v_fma_f16 v9, v9, -0.5, v0
	v_add_f16_e32 v0, v0, v2
	v_sub_f16_e32 v10, v1, v3
	s_mov_b32 s0, 0xbaee
	v_add_f16_e32 v32, v29, v31
	v_sub_f16_e32 v13, v2, v11
	s_movk_i32 s1, 0x3aee
	v_sub_f16_e32 v15, v29, v31
	v_add_f16_e32 v0, v0, v11
	v_add_f16_e32 v11, v1, v3
	v_add_f16_e32 v1, v8, v1
	v_add_f16_e32 v30, v16, v25
	v_fma_f16 v32, v32, -0.5, v28
	v_fma_f16 v24, v15, s0, v9
	v_fma_f16 v9, v15, s1, v9
	v_add_f16_e32 v1, v1, v3
	v_add_f16_e32 v3, v28, v29
	v_fma_f16 v30, v30, -0.5, v14
	v_fma_f16 v17, v13, s1, v32
	v_fma_f16 v13, v13, s0, v32
	v_mul_f16_e32 v15, 0.5, v9
	v_add_f16_e32 v14, v14, v16
	v_fma_f16 v11, v11, -0.5, v8
	v_sub_f16_e32 v16, v16, v25
	v_mul_f16_e32 v9, 0xbaee, v9
	v_add_f16_e32 v3, v3, v31
	v_fma_f16 v12, v10, s0, v30
	v_mul_f16_e32 v27, -0.5, v24
	v_fma_f16 v10, v10, s1, v30
	v_fma_f16 v15, v13, s1, v15
	v_add_f16_e32 v14, v14, v25
	v_fma_f16 v25, v16, s1, v11
	v_mul_f16_e32 v24, 0xbaee, v24
	v_fma_f16 v11, v16, s0, v11
	v_fma_f16 v9, v13, 0.5, v9
	v_sub_f16_e32 v8, v1, v3
	v_add_f16_e32 v1, v1, v3
	v_and_b32_e32 v3, 0xfc, v26
	v_fma_f16 v27, v17, s1, v27
	v_sub_f16_e32 v30, v10, v15
	v_sub_f16_e32 v2, v14, v0
	v_fma_f16 v17, v17, -0.5, v24
	v_sub_f16_e32 v13, v11, v9
	v_add_f16_e32 v10, v10, v15
	v_add_f16_e32 v0, v14, v0
	;; [unrolled: 1-line block ×3, first 2 shown]
	v_add_u32_e32 v3, v3, v23
	v_sub_f16_e32 v33, v12, v27
	v_add_f16_e32 v12, v12, v27
	v_add_f16_e32 v14, v25, v17
	v_lshl_add_u32 v3, v3, 2, v22
	v_pack_b32_f16 v0, v1, v0
	v_pack_b32_f16 v1, v9, v10
	v_sub_f16_e32 v24, v25, v17
	ds_write2_b32 v3, v0, v1 offset1:10
	v_pack_b32_f16 v0, v14, v12
	v_pack_b32_f16 v1, v8, v2
	ds_write2_b32 v3, v0, v1 offset0:20 offset1:30
	v_pack_b32_f16 v0, v13, v30
	v_pack_b32_f16 v1, v24, v33
	ds_write2_b32 v3, v0, v1 offset0:40 offset1:50
.LBB0_21:
	s_or_b64 exec, exec, s[4:5]
	s_waitcnt lgkmcnt(0)
	s_barrier
	ds_read2_b32 v[0:1], v18 offset1:60
	ds_read_b32 v2, v18 offset:480
	s_mov_b32 s0, 0xbaee
	s_movk_i32 s1, 0x3aee
	s_waitcnt lgkmcnt(1)
	v_lshrrev_b32_e32 v8, 16, v1
	v_mul_f16_sdwa v10, v6, v8 dst_sel:DWORD dst_unused:UNUSED_PAD src0_sel:WORD_1 src1_sel:DWORD
	s_waitcnt lgkmcnt(0)
	v_lshrrev_b32_e32 v9, 16, v2
	v_fma_f16 v10, v6, v1, v10
	v_mul_f16_sdwa v1, v6, v1 dst_sel:DWORD dst_unused:UNUSED_PAD src0_sel:WORD_1 src1_sel:DWORD
	v_fma_f16 v1, v6, v8, -v1
	v_mul_f16_sdwa v6, v7, v9 dst_sel:DWORD dst_unused:UNUSED_PAD src0_sel:WORD_1 src1_sel:DWORD
	v_fma_f16 v6, v7, v2, v6
	v_mul_f16_sdwa v2, v7, v2 dst_sel:DWORD dst_unused:UNUSED_PAD src0_sel:WORD_1 src1_sel:DWORD
	v_fma_f16 v2, v7, v9, -v2
	v_add_f16_e32 v8, v10, v6
	v_lshrrev_b32_e32 v3, 16, v0
	v_add_f16_e32 v7, v0, v10
	v_fma_f16 v0, v8, -0.5, v0
	v_sub_f16_e32 v8, v1, v2
	v_fma_f16 v9, v8, s0, v0
	v_fma_f16 v0, v8, s1, v0
	v_add_f16_e32 v8, v3, v1
	v_add_f16_e32 v1, v1, v2
	;; [unrolled: 1-line block ×3, first 2 shown]
	v_fma_f16 v1, v1, -0.5, v3
	v_sub_f16_e32 v2, v10, v6
	v_add_f16_e32 v7, v7, v6
	v_fma_f16 v3, v2, s1, v1
	v_fma_f16 v1, v2, s0, v1
	v_pack_b32_f16 v2, v7, v8
	v_pack_b32_f16 v3, v9, v3
	;; [unrolled: 1-line block ×3, first 2 shown]
	ds_write2_b32 v19, v2, v3 offset1:60
	ds_write_b32 v19, v0 offset:480
	s_waitcnt lgkmcnt(0)
	s_barrier
	s_and_b64 exec, exec, vcc
	s_cbranch_execz .LBB0_23
; %bb.22:
	global_load_dword v12, v5, s[12:13]
	ds_read_b32 v15, v19
	global_load_dword v8, v5, s[12:13] offset:72
	global_load_dword v9, v5, s[12:13] offset:144
	;; [unrolled: 1-line block ×7, first 2 shown]
	v_mad_u64_u32 v[2:3], s[0:1], s10, v4, 0
	v_mov_b32_e32 v18, v3
	s_waitcnt lgkmcnt(0)
	v_lshrrev_b32_e32 v3, 16, v15
	v_lshl_add_u32 v7, v21, 2, v5
	s_mov_b32 s6, 0x16c16c17
	s_mov_b32 s7, 0x3f76c16c
	s_movk_i32 s10, 0x1ff
	s_movk_i32 s14, 0xffe
	s_mov_b32 s16, 0x8000
	v_mov_b32_e32 v0, s2
	v_mov_b32_e32 v1, s3
	v_mov_b32_e32 v6, 0x7c00
	s_movk_i32 s15, 0x40f
	ds_read_b32 v17, v7 offset:648
	s_waitcnt vmcnt(7)
	v_mul_f16_sdwa v19, v3, v12 dst_sel:DWORD dst_unused:UNUSED_PAD src0_sel:DWORD src1_sel:WORD_1
	v_mul_f16_sdwa v21, v15, v12 dst_sel:DWORD dst_unused:UNUSED_PAD src0_sel:DWORD src1_sel:WORD_1
	v_fma_f16 v15, v15, v12, v19
	v_fma_f16 v3, v12, v3, -v21
	v_cvt_f32_f16_e32 v12, v15
	v_cvt_f32_f16_e32 v15, v3
	v_mad_u64_u32 v[18:19], s[0:1], s11, v4, v[18:19]
	v_mov_b32_e32 v3, v18
	v_cvt_f64_f32_e32 v[18:19], v12
	v_cvt_f64_f32_e32 v[22:23], v15
	v_mul_f64 v[18:19], v[18:19], s[6:7]
	v_mul_f64 v[22:23], v[22:23], s[6:7]
	v_and_or_b32 v4, v19, s10, v18
	v_and_or_b32 v18, v23, s10, v22
	v_cmp_ne_u32_e32 vcc, 0, v4
	v_lshrrev_b32_e32 v12, 8, v19
	v_bfe_u32 v15, v19, 20, 11
	v_cndmask_b32_e64 v4, 0, 1, vcc
	v_cmp_ne_u32_e32 vcc, 0, v18
	v_and_b32_sdwa v24, v19, s16 dst_sel:DWORD dst_unused:UNUSED_PAD src0_sel:WORD_1 src1_sel:DWORD
	v_lshrrev_b32_e32 v19, 8, v23
	v_bfe_u32 v21, v23, 20, 11
	v_sub_u32_e32 v22, 0x3f1, v15
	v_cndmask_b32_e64 v18, 0, 1, vcc
	v_and_or_b32 v4, v12, s14, v4
	v_sub_u32_e32 v25, 0x3f1, v21
	v_med3_i32 v12, v22, 0, 13
	v_and_or_b32 v18, v19, s14, v18
	v_or_b32_e32 v22, 0x1000, v4
	v_add_u32_e32 v15, 0xfffffc10, v15
	v_med3_i32 v19, v25, 0, 13
	v_cmp_ne_u32_e32 vcc, 0, v4
	v_or_b32_e32 v26, 0x1000, v18
	v_lshrrev_b32_e32 v28, v12, v22
	v_add_u32_e32 v21, 0xfffffc10, v21
	v_lshl_or_b32 v25, v15, 12, v4
	v_cndmask_b32_e64 v4, 0, 1, vcc
	v_cmp_ne_u32_e32 vcc, 0, v18
	v_lshrrev_b32_e32 v29, v19, v26
	v_lshlrev_b32_e32 v12, v12, v28
	v_lshl_or_b32 v27, v21, 12, v18
	v_cndmask_b32_e64 v18, 0, 1, vcc
	v_lshlrev_b32_e32 v19, v19, v29
	v_cmp_ne_u32_e32 vcc, v12, v22
	v_lshl_or_b32 v4, v4, 9, v6
	v_lshl_or_b32 v18, v18, 9, v6
	v_cndmask_b32_e64 v12, 0, 1, vcc
	v_cmp_ne_u32_e32 vcc, v19, v26
	v_or_b32_e32 v12, v28, v12
	v_lshl_add_u64 v[0:1], v[2:3], 2, v[0:1]
	v_cndmask_b32_e64 v19, 0, 1, vcc
	v_cmp_gt_i32_e32 vcc, 1, v15
	v_or_b32_e32 v19, v29, v19
	s_nop 0
	v_cndmask_b32_e32 v12, v25, v12, vcc
	v_cmp_gt_i32_e32 vcc, 1, v21
	v_and_b32_e32 v22, 7, v12
	v_cmp_eq_u32_e64 s[0:1], 3, v22
	v_cndmask_b32_e32 v19, v27, v19, vcc
	v_cmp_lt_i32_e32 vcc, 5, v22
	v_lshrrev_b32_e32 v12, 2, v12
	v_and_b32_e32 v25, 7, v19
	s_or_b64 vcc, s[0:1], vcc
	v_cmp_lt_i32_e64 s[2:3], 5, v25
	v_cmp_eq_u32_e64 s[4:5], 3, v25
	v_addc_co_u32_e32 v12, vcc, 0, v12, vcc
	v_lshrrev_b32_e32 v19, 2, v19
	s_or_b64 vcc, s[4:5], s[2:3]
	v_addc_co_u32_e32 v19, vcc, 0, v19, vcc
	v_cmp_gt_i32_e32 vcc, 31, v15
	s_mov_b32 s2, 0xffff
	s_mul_i32 s3, s9, 0x48
	v_cndmask_b32_e32 v12, v6, v12, vcc
	v_cmp_gt_i32_e32 vcc, 31, v21
	s_nop 1
	v_cndmask_b32_e32 v19, v6, v19, vcc
	v_cmp_eq_u32_e32 vcc, s15, v15
	v_lshrrev_b32_e32 v15, 16, v23
	ds_read2_b32 v[22:23], v7 offset0:18 offset1:36
	v_cndmask_b32_e32 v12, v12, v4, vcc
	v_cmp_eq_u32_e32 vcc, s15, v21
	s_nop 1
	v_cndmask_b32_e32 v4, v19, v18, vcc
	v_mad_u64_u32 v[18:19], s[0:1], s8, v20, 0
	v_and_or_b32 v15, v15, s16, v4
	v_mov_b32_e32 v4, v19
	v_mad_u64_u32 v[20:21], s[0:1], s9, v20, v[4:5]
	v_bitop3_b32 v4, v24, s2, v12 bitop3:0xc8
	s_waitcnt lgkmcnt(0)
	v_lshrrev_b32_e32 v12, 16, v22
	v_lshl_or_b32 v4, v15, 16, v4
	s_waitcnt vmcnt(6)
	v_mul_f16_sdwa v15, v12, v8 dst_sel:DWORD dst_unused:UNUSED_PAD src0_sel:DWORD src1_sel:WORD_1
	v_fma_f16 v15, v22, v8, v15
	v_cvt_f32_f16_e32 v15, v15
	v_mov_b32_e32 v19, v20
	v_lshl_add_u64 v[2:3], v[18:19], 2, v[0:1]
	global_store_dword v[2:3], v4, off
	v_cvt_f64_f32_e32 v[0:1], v15
	v_mul_f64 v[0:1], v[0:1], s[6:7]
	v_and_or_b32 v0, v1, s10, v0
	v_cmp_ne_u32_e32 vcc, 0, v0
	v_lshrrev_b32_e32 v4, 8, v1
	v_bfe_u32 v15, v1, 20, 11
	v_cndmask_b32_e64 v0, 0, 1, vcc
	v_and_or_b32 v0, v4, s14, v0
	v_sub_u32_e32 v18, 0x3f1, v15
	v_or_b32_e32 v4, 0x1000, v0
	v_med3_i32 v18, v18, 0, 13
	v_lshrrev_b32_e32 v19, v18, v4
	v_lshlrev_b32_e32 v18, v18, v19
	v_cmp_ne_u32_e32 vcc, v18, v4
	v_add_u32_e32 v15, 0xfffffc10, v15
	v_lshl_or_b32 v18, v15, 12, v0
	v_cndmask_b32_e64 v4, 0, 1, vcc
	v_or_b32_e32 v4, v19, v4
	v_cmp_gt_i32_e32 vcc, 1, v15
	s_nop 1
	v_cndmask_b32_e32 v4, v18, v4, vcc
	v_and_b32_e32 v18, 7, v4
	v_cmp_lt_i32_e32 vcc, 5, v18
	v_cmp_eq_u32_e64 s[0:1], 3, v18
	v_lshrrev_b32_e32 v4, 2, v4
	s_or_b64 vcc, s[0:1], vcc
	v_mul_f16_sdwa v18, v22, v8 dst_sel:DWORD dst_unused:UNUSED_PAD src0_sel:DWORD src1_sel:WORD_1
	v_addc_co_u32_e32 v4, vcc, 0, v4, vcc
	v_fma_f16 v8, v8, v12, -v18
	v_cmp_gt_i32_e32 vcc, 31, v15
	v_cvt_f32_f16_e32 v8, v8
	v_and_b32_sdwa v12, v1, s16 dst_sel:DWORD dst_unused:UNUSED_PAD src0_sel:WORD_1 src1_sel:DWORD
	v_cndmask_b32_e32 v4, v6, v4, vcc
	v_cmp_ne_u32_e32 vcc, 0, v0
	s_nop 1
	v_cndmask_b32_e64 v0, 0, 1, vcc
	v_lshl_or_b32 v0, v0, 9, v6
	v_cmp_eq_u32_e32 vcc, s15, v15
	s_nop 1
	v_cndmask_b32_e32 v4, v4, v0, vcc
	v_cvt_f64_f32_e32 v[0:1], v8
	v_mul_f64 v[0:1], v[0:1], s[6:7]
	v_and_or_b32 v0, v1, s10, v0
	v_cmp_ne_u32_e32 vcc, 0, v0
	v_lshrrev_b32_e32 v8, 8, v1
	v_bfe_u32 v15, v1, 20, 11
	v_cndmask_b32_e64 v0, 0, 1, vcc
	v_and_or_b32 v0, v8, s14, v0
	v_sub_u32_e32 v18, 0x3f1, v15
	v_or_b32_e32 v8, 0x1000, v0
	v_med3_i32 v18, v18, 0, 13
	v_lshrrev_b32_e32 v19, v18, v8
	v_lshlrev_b32_e32 v18, v18, v19
	v_cmp_ne_u32_e32 vcc, v18, v8
	v_add_u32_e32 v15, 0xfffffc10, v15
	v_lshl_or_b32 v18, v15, 12, v0
	v_cndmask_b32_e64 v8, 0, 1, vcc
	v_or_b32_e32 v8, v19, v8
	v_cmp_gt_i32_e32 vcc, 1, v15
	v_lshrrev_b32_e32 v1, 16, v1
	s_nop 0
	v_cndmask_b32_e32 v8, v18, v8, vcc
	v_and_b32_e32 v18, 7, v8
	v_cmp_lt_i32_e32 vcc, 5, v18
	v_cmp_eq_u32_e64 s[0:1], 3, v18
	v_lshrrev_b32_e32 v8, 2, v8
	s_or_b64 vcc, s[0:1], vcc
	v_addc_co_u32_e32 v8, vcc, 0, v8, vcc
	v_cmp_gt_i32_e32 vcc, 31, v15
	s_nop 1
	v_cndmask_b32_e32 v8, v6, v8, vcc
	v_cmp_ne_u32_e32 vcc, 0, v0
	s_nop 1
	v_cndmask_b32_e64 v0, 0, 1, vcc
	v_lshl_or_b32 v0, v0, 9, v6
	v_cmp_eq_u32_e32 vcc, s15, v15
	s_nop 1
	v_cndmask_b32_e32 v0, v8, v0, vcc
	v_and_or_b32 v0, v1, s16, v0
	v_bitop3_b32 v1, v12, s2, v4 bitop3:0xc8
	v_lshrrev_b32_e32 v4, 16, v23
	s_waitcnt vmcnt(6)
	v_mul_f16_sdwa v8, v4, v9 dst_sel:DWORD dst_unused:UNUSED_PAD src0_sel:DWORD src1_sel:WORD_1
	v_fma_f16 v8, v23, v9, v8
	v_cvt_f32_f16_e32 v8, v8
	v_lshl_or_b32 v1, v0, 16, v1
	v_mov_b32_e32 v0, 0x48
	v_mad_u64_u32 v[2:3], s[0:1], s8, v0, v[2:3]
	v_cvt_f64_f32_e32 v[18:19], v8
	v_add_u32_e32 v3, s3, v3
	v_mul_f64 v[18:19], v[18:19], s[6:7]
	global_store_dword v[2:3], v1, off
	v_and_or_b32 v1, v19, s10, v18
	v_cmp_ne_u32_e32 vcc, 0, v1
	v_lshrrev_b32_e32 v8, 8, v19
	v_bfe_u32 v12, v19, 20, 11
	v_cndmask_b32_e64 v1, 0, 1, vcc
	v_and_or_b32 v1, v8, s14, v1
	v_sub_u32_e32 v15, 0x3f1, v12
	v_or_b32_e32 v8, 0x1000, v1
	v_med3_i32 v15, v15, 0, 13
	v_lshrrev_b32_e32 v18, v15, v8
	v_lshlrev_b32_e32 v15, v15, v18
	v_cmp_ne_u32_e32 vcc, v15, v8
	v_add_u32_e32 v12, 0xfffffc10, v12
	v_lshl_or_b32 v15, v12, 12, v1
	v_cndmask_b32_e64 v8, 0, 1, vcc
	v_or_b32_e32 v8, v18, v8
	v_cmp_gt_i32_e32 vcc, 1, v12
	s_nop 1
	v_cndmask_b32_e32 v8, v15, v8, vcc
	v_and_b32_e32 v15, 7, v8
	v_cmp_lt_i32_e32 vcc, 5, v15
	v_cmp_eq_u32_e64 s[0:1], 3, v15
	v_lshrrev_b32_e32 v8, 2, v8
	s_or_b64 vcc, s[0:1], vcc
	v_mul_f16_sdwa v15, v23, v9 dst_sel:DWORD dst_unused:UNUSED_PAD src0_sel:DWORD src1_sel:WORD_1
	v_addc_co_u32_e32 v8, vcc, 0, v8, vcc
	v_fma_f16 v4, v9, v4, -v15
	v_cmp_gt_i32_e32 vcc, 31, v12
	v_cvt_f32_f16_e32 v4, v4
	s_nop 0
	v_cndmask_b32_e32 v8, v6, v8, vcc
	v_cmp_ne_u32_e32 vcc, 0, v1
	s_nop 1
	v_cndmask_b32_e64 v1, 0, 1, vcc
	v_lshl_or_b32 v1, v1, 9, v6
	v_cmp_eq_u32_e32 vcc, s15, v12
	v_and_b32_sdwa v12, v19, s16 dst_sel:DWORD dst_unused:UNUSED_PAD src0_sel:WORD_1 src1_sel:DWORD
	s_nop 0
	v_cndmask_b32_e32 v1, v8, v1, vcc
	v_cvt_f64_f32_e32 v[8:9], v4
	v_mul_f64 v[8:9], v[8:9], s[6:7]
	v_and_or_b32 v4, v9, s10, v8
	v_cmp_ne_u32_e32 vcc, 0, v4
	v_lshrrev_b32_e32 v8, 8, v9
	v_bfe_u32 v15, v9, 20, 11
	v_cndmask_b32_e64 v4, 0, 1, vcc
	v_and_or_b32 v4, v8, s14, v4
	v_sub_u32_e32 v18, 0x3f1, v15
	v_or_b32_e32 v8, 0x1000, v4
	v_med3_i32 v18, v18, 0, 13
	v_lshrrev_b32_e32 v19, v18, v8
	v_lshlrev_b32_e32 v18, v18, v19
	v_cmp_ne_u32_e32 vcc, v18, v8
	v_add_u32_e32 v15, 0xfffffc10, v15
	v_lshl_or_b32 v18, v15, 12, v4
	v_cndmask_b32_e64 v8, 0, 1, vcc
	v_or_b32_e32 v8, v19, v8
	v_cmp_gt_i32_e32 vcc, 1, v15
	v_bitop3_b32 v1, v12, s2, v1 bitop3:0xc8
	s_nop 0
	v_cndmask_b32_e32 v8, v18, v8, vcc
	v_and_b32_e32 v18, 7, v8
	v_cmp_lt_i32_e32 vcc, 5, v18
	v_cmp_eq_u32_e64 s[0:1], 3, v18
	v_lshrrev_b32_e32 v8, 2, v8
	s_or_b64 vcc, s[0:1], vcc
	v_addc_co_u32_e32 v8, vcc, 0, v8, vcc
	v_cmp_gt_i32_e32 vcc, 31, v15
	ds_read2_b32 v[18:19], v7 offset0:54 offset1:72
	v_mad_u64_u32 v[2:3], s[0:1], s8, v0, v[2:3]
	v_cndmask_b32_e32 v8, v6, v8, vcc
	v_cmp_ne_u32_e32 vcc, 0, v4
	v_add_u32_e32 v3, s3, v3
	s_nop 0
	v_cndmask_b32_e64 v4, 0, 1, vcc
	v_lshl_or_b32 v4, v4, 9, v6
	v_cmp_eq_u32_e32 vcc, s15, v15
	s_nop 1
	v_cndmask_b32_e32 v4, v8, v4, vcc
	v_lshrrev_b32_e32 v8, 16, v9
	v_and_or_b32 v4, v8, s16, v4
	v_lshl_or_b32 v1, v4, 16, v1
	s_waitcnt lgkmcnt(0)
	v_lshrrev_b32_e32 v4, 16, v18
	s_waitcnt vmcnt(6)
	v_mul_f16_sdwa v8, v4, v10 dst_sel:DWORD dst_unused:UNUSED_PAD src0_sel:DWORD src1_sel:WORD_1
	v_fma_f16 v8, v18, v10, v8
	v_cvt_f32_f16_e32 v8, v8
	global_store_dword v[2:3], v1, off
	v_cvt_f64_f32_e32 v[8:9], v8
	v_mul_f64 v[8:9], v[8:9], s[6:7]
	v_and_or_b32 v1, v9, s10, v8
	v_cmp_ne_u32_e32 vcc, 0, v1
	v_lshrrev_b32_e32 v8, 8, v9
	v_bfe_u32 v12, v9, 20, 11
	v_cndmask_b32_e64 v1, 0, 1, vcc
	v_and_or_b32 v1, v8, s14, v1
	v_sub_u32_e32 v15, 0x3f1, v12
	v_or_b32_e32 v8, 0x1000, v1
	v_med3_i32 v15, v15, 0, 13
	v_lshrrev_b32_e32 v20, v15, v8
	v_lshlrev_b32_e32 v15, v15, v20
	v_cmp_ne_u32_e32 vcc, v15, v8
	v_add_u32_e32 v12, 0xfffffc10, v12
	v_lshl_or_b32 v15, v12, 12, v1
	v_cndmask_b32_e64 v8, 0, 1, vcc
	v_or_b32_e32 v8, v20, v8
	v_cmp_gt_i32_e32 vcc, 1, v12
	s_nop 1
	v_cndmask_b32_e32 v8, v15, v8, vcc
	v_and_b32_e32 v15, 7, v8
	v_cmp_lt_i32_e32 vcc, 5, v15
	v_cmp_eq_u32_e64 s[0:1], 3, v15
	v_lshrrev_b32_e32 v8, 2, v8
	s_or_b64 vcc, s[0:1], vcc
	v_mul_f16_sdwa v15, v18, v10 dst_sel:DWORD dst_unused:UNUSED_PAD src0_sel:DWORD src1_sel:WORD_1
	v_addc_co_u32_e32 v8, vcc, 0, v8, vcc
	v_fma_f16 v4, v10, v4, -v15
	v_cmp_gt_i32_e32 vcc, 31, v12
	v_cvt_f32_f16_e32 v4, v4
	v_and_b32_sdwa v10, v9, s16 dst_sel:DWORD dst_unused:UNUSED_PAD src0_sel:WORD_1 src1_sel:DWORD
	v_cndmask_b32_e32 v8, v6, v8, vcc
	v_cmp_ne_u32_e32 vcc, 0, v1
	s_nop 1
	v_cndmask_b32_e64 v1, 0, 1, vcc
	v_lshl_or_b32 v1, v1, 9, v6
	v_cmp_eq_u32_e32 vcc, s15, v12
	s_nop 1
	v_cndmask_b32_e32 v1, v8, v1, vcc
	v_cvt_f64_f32_e32 v[8:9], v4
	v_mul_f64 v[8:9], v[8:9], s[6:7]
	v_and_or_b32 v4, v9, s10, v8
	v_cmp_ne_u32_e32 vcc, 0, v4
	v_lshrrev_b32_e32 v8, 8, v9
	v_bfe_u32 v12, v9, 20, 11
	v_cndmask_b32_e64 v4, 0, 1, vcc
	v_and_or_b32 v4, v8, s14, v4
	v_sub_u32_e32 v15, 0x3f1, v12
	v_or_b32_e32 v8, 0x1000, v4
	v_med3_i32 v15, v15, 0, 13
	v_lshrrev_b32_e32 v18, v15, v8
	v_lshlrev_b32_e32 v15, v15, v18
	v_cmp_ne_u32_e32 vcc, v15, v8
	v_add_u32_e32 v12, 0xfffffc10, v12
	v_lshl_or_b32 v15, v12, 12, v4
	v_cndmask_b32_e64 v8, 0, 1, vcc
	v_or_b32_e32 v8, v18, v8
	v_cmp_gt_i32_e32 vcc, 1, v12
	v_bitop3_b32 v1, v10, s2, v1 bitop3:0xc8
	s_nop 0
	v_cndmask_b32_e32 v8, v15, v8, vcc
	v_and_b32_e32 v15, 7, v8
	v_cmp_lt_i32_e32 vcc, 5, v15
	v_cmp_eq_u32_e64 s[0:1], 3, v15
	v_lshrrev_b32_e32 v8, 2, v8
	s_or_b64 vcc, s[0:1], vcc
	v_addc_co_u32_e32 v8, vcc, 0, v8, vcc
	v_cmp_gt_i32_e32 vcc, 31, v12
	v_mad_u64_u32 v[2:3], s[0:1], s8, v0, v[2:3]
	s_nop 0
	v_cndmask_b32_e32 v8, v6, v8, vcc
	v_cmp_ne_u32_e32 vcc, 0, v4
	v_add_u32_e32 v3, s3, v3
	s_nop 0
	v_cndmask_b32_e64 v4, 0, 1, vcc
	v_lshl_or_b32 v4, v4, 9, v6
	v_cmp_eq_u32_e32 vcc, s15, v12
	s_nop 1
	v_cndmask_b32_e32 v4, v8, v4, vcc
	v_lshrrev_b32_e32 v8, 16, v9
	v_and_or_b32 v4, v8, s16, v4
	v_lshl_or_b32 v1, v4, 16, v1
	v_lshrrev_b32_e32 v4, 16, v19
	s_waitcnt vmcnt(6)
	v_mul_f16_sdwa v8, v4, v11 dst_sel:DWORD dst_unused:UNUSED_PAD src0_sel:DWORD src1_sel:WORD_1
	v_fma_f16 v8, v19, v11, v8
	v_cvt_f32_f16_e32 v8, v8
	global_store_dword v[2:3], v1, off
	v_cvt_f64_f32_e32 v[8:9], v8
	v_mul_f64 v[8:9], v[8:9], s[6:7]
	v_and_or_b32 v1, v9, s10, v8
	v_cmp_ne_u32_e32 vcc, 0, v1
	v_lshrrev_b32_e32 v8, 8, v9
	v_bfe_u32 v10, v9, 20, 11
	v_cndmask_b32_e64 v1, 0, 1, vcc
	v_and_or_b32 v1, v8, s14, v1
	v_sub_u32_e32 v12, 0x3f1, v10
	v_or_b32_e32 v8, 0x1000, v1
	v_med3_i32 v12, v12, 0, 13
	v_lshrrev_b32_e32 v15, v12, v8
	v_lshlrev_b32_e32 v12, v12, v15
	v_cmp_ne_u32_e32 vcc, v12, v8
	v_add_u32_e32 v10, 0xfffffc10, v10
	v_lshl_or_b32 v12, v10, 12, v1
	v_cndmask_b32_e64 v8, 0, 1, vcc
	v_or_b32_e32 v8, v15, v8
	v_cmp_gt_i32_e32 vcc, 1, v10
	s_nop 1
	v_cndmask_b32_e32 v8, v12, v8, vcc
	v_and_b32_e32 v12, 7, v8
	v_cmp_lt_i32_e32 vcc, 5, v12
	v_cmp_eq_u32_e64 s[0:1], 3, v12
	v_lshrrev_b32_e32 v8, 2, v8
	s_or_b64 vcc, s[0:1], vcc
	v_mul_f16_sdwa v12, v19, v11 dst_sel:DWORD dst_unused:UNUSED_PAD src0_sel:DWORD src1_sel:WORD_1
	v_addc_co_u32_e32 v8, vcc, 0, v8, vcc
	v_fma_f16 v4, v11, v4, -v12
	v_cmp_gt_i32_e32 vcc, 31, v10
	v_cvt_f32_f16_e32 v4, v4
	v_and_b32_sdwa v12, v9, s16 dst_sel:DWORD dst_unused:UNUSED_PAD src0_sel:WORD_1 src1_sel:DWORD
	v_cndmask_b32_e32 v8, v6, v8, vcc
	v_cmp_ne_u32_e32 vcc, 0, v1
	s_nop 1
	v_cndmask_b32_e64 v1, 0, 1, vcc
	v_lshl_or_b32 v1, v1, 9, v6
	v_cmp_eq_u32_e32 vcc, s15, v10
	s_nop 1
	v_cndmask_b32_e32 v1, v8, v1, vcc
	v_cvt_f64_f32_e32 v[8:9], v4
	v_mul_f64 v[8:9], v[8:9], s[6:7]
	v_and_or_b32 v4, v9, s10, v8
	v_cmp_ne_u32_e32 vcc, 0, v4
	v_lshrrev_b32_e32 v8, 8, v9
	v_bfe_u32 v10, v9, 20, 11
	v_cndmask_b32_e64 v4, 0, 1, vcc
	v_and_or_b32 v4, v8, s14, v4
	v_sub_u32_e32 v11, 0x3f1, v10
	v_or_b32_e32 v8, 0x1000, v4
	v_med3_i32 v11, v11, 0, 13
	v_lshrrev_b32_e32 v15, v11, v8
	v_lshlrev_b32_e32 v11, v11, v15
	v_cmp_ne_u32_e32 vcc, v11, v8
	v_add_u32_e32 v10, 0xfffffc10, v10
	v_lshl_or_b32 v11, v10, 12, v4
	v_cndmask_b32_e64 v8, 0, 1, vcc
	v_or_b32_e32 v8, v15, v8
	v_cmp_gt_i32_e32 vcc, 1, v10
	v_bitop3_b32 v1, v12, s2, v1 bitop3:0xc8
	s_nop 0
	v_cndmask_b32_e32 v8, v11, v8, vcc
	v_and_b32_e32 v11, 7, v8
	v_cmp_lt_i32_e32 vcc, 5, v11
	v_cmp_eq_u32_e64 s[0:1], 3, v11
	v_lshrrev_b32_e32 v8, 2, v8
	s_or_b64 vcc, s[0:1], vcc
	v_addc_co_u32_e32 v8, vcc, 0, v8, vcc
	v_cmp_gt_i32_e32 vcc, 31, v10
	v_mad_u64_u32 v[2:3], s[0:1], s8, v0, v[2:3]
	s_nop 0
	v_cndmask_b32_e32 v8, v6, v8, vcc
	v_cmp_ne_u32_e32 vcc, 0, v4
	v_add_u32_e32 v3, s3, v3
	s_nop 0
	v_cndmask_b32_e64 v4, 0, 1, vcc
	v_cmp_eq_u32_e32 vcc, s15, v10
	ds_read2_b32 v[10:11], v7 offset0:90 offset1:108
	v_lshl_or_b32 v4, v4, 9, v6
	v_cndmask_b32_e32 v4, v8, v4, vcc
	v_lshrrev_b32_e32 v8, 16, v9
	v_and_or_b32 v4, v8, s16, v4
	v_lshl_or_b32 v1, v4, 16, v1
	s_waitcnt lgkmcnt(0)
	v_lshrrev_b32_e32 v4, 16, v10
	s_waitcnt vmcnt(6)
	v_mul_f16_sdwa v8, v4, v13 dst_sel:DWORD dst_unused:UNUSED_PAD src0_sel:DWORD src1_sel:WORD_1
	v_fma_f16 v8, v10, v13, v8
	v_cvt_f32_f16_e32 v8, v8
	global_store_dword v[2:3], v1, off
	v_mul_f16_sdwa v10, v10, v13 dst_sel:DWORD dst_unused:UNUSED_PAD src0_sel:DWORD src1_sel:WORD_1
	v_fma_f16 v4, v13, v4, -v10
	v_cvt_f64_f32_e32 v[8:9], v8
	v_mul_f64 v[8:9], v[8:9], s[6:7]
	v_and_or_b32 v1, v9, s10, v8
	v_cmp_ne_u32_e32 vcc, 0, v1
	v_lshrrev_b32_e32 v8, 8, v9
	v_bfe_u32 v12, v9, 20, 11
	v_cndmask_b32_e64 v1, 0, 1, vcc
	v_and_or_b32 v1, v8, s14, v1
	v_sub_u32_e32 v15, 0x3f1, v12
	v_or_b32_e32 v8, 0x1000, v1
	v_med3_i32 v15, v15, 0, 13
	v_lshrrev_b32_e32 v18, v15, v8
	v_lshlrev_b32_e32 v15, v15, v18
	v_cmp_ne_u32_e32 vcc, v15, v8
	v_add_u32_e32 v12, 0xfffffc10, v12
	v_lshl_or_b32 v15, v12, 12, v1
	v_cndmask_b32_e64 v8, 0, 1, vcc
	v_or_b32_e32 v8, v18, v8
	v_cmp_gt_i32_e32 vcc, 1, v12
	v_cvt_f32_f16_e32 v4, v4
	v_and_b32_sdwa v10, v9, s16 dst_sel:DWORD dst_unused:UNUSED_PAD src0_sel:WORD_1 src1_sel:DWORD
	v_cndmask_b32_e32 v8, v15, v8, vcc
	v_and_b32_e32 v15, 7, v8
	v_cmp_lt_i32_e32 vcc, 5, v15
	v_cmp_eq_u32_e64 s[0:1], 3, v15
	v_lshrrev_b32_e32 v8, 2, v8
	s_or_b64 vcc, s[0:1], vcc
	v_addc_co_u32_e32 v8, vcc, 0, v8, vcc
	v_cmp_gt_i32_e32 vcc, 31, v12
	s_nop 1
	v_cndmask_b32_e32 v8, v6, v8, vcc
	v_cmp_ne_u32_e32 vcc, 0, v1
	s_nop 1
	v_cndmask_b32_e64 v1, 0, 1, vcc
	v_lshl_or_b32 v1, v1, 9, v6
	v_cmp_eq_u32_e32 vcc, s15, v12
	s_nop 1
	v_cndmask_b32_e32 v1, v8, v1, vcc
	v_cvt_f64_f32_e32 v[8:9], v4
	v_mul_f64 v[8:9], v[8:9], s[6:7]
	v_and_or_b32 v4, v9, s10, v8
	v_cmp_ne_u32_e32 vcc, 0, v4
	v_lshrrev_b32_e32 v8, 8, v9
	v_bfe_u32 v12, v9, 20, 11
	v_cndmask_b32_e64 v4, 0, 1, vcc
	v_and_or_b32 v4, v8, s14, v4
	v_sub_u32_e32 v13, 0x3f1, v12
	v_or_b32_e32 v8, 0x1000, v4
	v_med3_i32 v13, v13, 0, 13
	v_lshrrev_b32_e32 v15, v13, v8
	v_lshlrev_b32_e32 v13, v13, v15
	v_cmp_ne_u32_e32 vcc, v13, v8
	v_add_u32_e32 v12, 0xfffffc10, v12
	v_lshl_or_b32 v13, v12, 12, v4
	v_cndmask_b32_e64 v8, 0, 1, vcc
	v_or_b32_e32 v8, v15, v8
	v_cmp_gt_i32_e32 vcc, 1, v12
	v_bitop3_b32 v1, v10, s2, v1 bitop3:0xc8
	s_nop 0
	v_cndmask_b32_e32 v8, v13, v8, vcc
	v_and_b32_e32 v13, 7, v8
	v_cmp_lt_i32_e32 vcc, 5, v13
	v_cmp_eq_u32_e64 s[0:1], 3, v13
	v_lshrrev_b32_e32 v8, 2, v8
	s_or_b64 vcc, s[0:1], vcc
	v_addc_co_u32_e32 v8, vcc, 0, v8, vcc
	v_cmp_gt_i32_e32 vcc, 31, v12
	v_mad_u64_u32 v[2:3], s[0:1], s8, v0, v[2:3]
	s_nop 0
	v_cndmask_b32_e32 v8, v6, v8, vcc
	v_cmp_ne_u32_e32 vcc, 0, v4
	v_add_u32_e32 v3, s3, v3
	s_nop 0
	v_cndmask_b32_e64 v4, 0, 1, vcc
	v_lshl_or_b32 v4, v4, 9, v6
	v_cmp_eq_u32_e32 vcc, s15, v12
	s_nop 1
	v_cndmask_b32_e32 v4, v8, v4, vcc
	v_lshrrev_b32_e32 v8, 16, v9
	v_and_or_b32 v4, v8, s16, v4
	v_lshl_or_b32 v1, v4, 16, v1
	v_lshrrev_b32_e32 v4, 16, v11
	s_waitcnt vmcnt(6)
	v_mul_f16_sdwa v8, v4, v14 dst_sel:DWORD dst_unused:UNUSED_PAD src0_sel:DWORD src1_sel:WORD_1
	v_fma_f16 v8, v11, v14, v8
	v_cvt_f32_f16_e32 v8, v8
	global_store_dword v[2:3], v1, off
	v_mul_f16_sdwa v11, v11, v14 dst_sel:DWORD dst_unused:UNUSED_PAD src0_sel:DWORD src1_sel:WORD_1
	v_fma_f16 v4, v14, v4, -v11
	v_cvt_f64_f32_e32 v[8:9], v8
	v_mul_f64 v[8:9], v[8:9], s[6:7]
	v_and_or_b32 v1, v9, s10, v8
	v_cmp_ne_u32_e32 vcc, 0, v1
	v_lshrrev_b32_e32 v8, 8, v9
	v_bfe_u32 v10, v9, 20, 11
	v_cndmask_b32_e64 v1, 0, 1, vcc
	v_and_or_b32 v1, v8, s14, v1
	v_sub_u32_e32 v12, 0x3f1, v10
	v_or_b32_e32 v8, 0x1000, v1
	v_med3_i32 v12, v12, 0, 13
	v_lshrrev_b32_e32 v13, v12, v8
	v_lshlrev_b32_e32 v12, v12, v13
	v_cmp_ne_u32_e32 vcc, v12, v8
	v_add_u32_e32 v10, 0xfffffc10, v10
	v_lshl_or_b32 v12, v10, 12, v1
	v_cndmask_b32_e64 v8, 0, 1, vcc
	v_or_b32_e32 v8, v13, v8
	v_cmp_gt_i32_e32 vcc, 1, v10
	v_cvt_f32_f16_e32 v4, v4
	s_nop 0
	v_cndmask_b32_e32 v8, v12, v8, vcc
	v_and_b32_e32 v12, 7, v8
	v_cmp_lt_i32_e32 vcc, 5, v12
	v_cmp_eq_u32_e64 s[0:1], 3, v12
	v_lshrrev_b32_e32 v8, 2, v8
	s_or_b64 vcc, s[0:1], vcc
	v_addc_co_u32_e32 v8, vcc, 0, v8, vcc
	v_cmp_gt_i32_e32 vcc, 31, v10
	s_nop 1
	v_cndmask_b32_e32 v8, v6, v8, vcc
	v_cmp_ne_u32_e32 vcc, 0, v1
	s_nop 1
	v_cndmask_b32_e64 v1, 0, 1, vcc
	v_lshl_or_b32 v1, v1, 9, v6
	v_cmp_eq_u32_e32 vcc, s15, v10
	v_and_b32_sdwa v10, v9, s16 dst_sel:DWORD dst_unused:UNUSED_PAD src0_sel:WORD_1 src1_sel:DWORD
	s_nop 0
	v_cndmask_b32_e32 v1, v8, v1, vcc
	v_cvt_f64_f32_e32 v[8:9], v4
	v_mul_f64 v[8:9], v[8:9], s[6:7]
	v_and_or_b32 v4, v9, s10, v8
	v_cmp_ne_u32_e32 vcc, 0, v4
	v_lshrrev_b32_e32 v8, 8, v9
	v_bfe_u32 v11, v9, 20, 11
	v_cndmask_b32_e64 v4, 0, 1, vcc
	v_and_or_b32 v4, v8, s14, v4
	v_sub_u32_e32 v12, 0x3f1, v11
	v_or_b32_e32 v8, 0x1000, v4
	v_med3_i32 v12, v12, 0, 13
	v_lshrrev_b32_e32 v13, v12, v8
	v_lshlrev_b32_e32 v12, v12, v13
	v_cmp_ne_u32_e32 vcc, v12, v8
	v_add_u32_e32 v11, 0xfffffc10, v11
	v_lshl_or_b32 v12, v11, 12, v4
	v_cndmask_b32_e64 v8, 0, 1, vcc
	v_or_b32_e32 v8, v13, v8
	v_cmp_gt_i32_e32 vcc, 1, v11
	v_bitop3_b32 v1, v10, s2, v1 bitop3:0xc8
	s_nop 0
	v_cndmask_b32_e32 v8, v12, v8, vcc
	v_and_b32_e32 v12, 7, v8
	v_cmp_lt_i32_e32 vcc, 5, v12
	v_cmp_eq_u32_e64 s[0:1], 3, v12
	v_lshrrev_b32_e32 v8, 2, v8
	s_or_b64 vcc, s[0:1], vcc
	v_addc_co_u32_e32 v8, vcc, 0, v8, vcc
	v_cmp_gt_i32_e32 vcc, 31, v11
	global_load_dword v12, v5, s[12:13] offset:576
	v_mad_u64_u32 v[2:3], s[0:1], s8, v0, v[2:3]
	v_cndmask_b32_e32 v8, v6, v8, vcc
	v_cmp_ne_u32_e32 vcc, 0, v4
	v_add_u32_e32 v3, s3, v3
	s_nop 0
	v_cndmask_b32_e64 v4, 0, 1, vcc
	v_lshl_or_b32 v4, v4, 9, v6
	v_cmp_eq_u32_e32 vcc, s15, v11
	s_nop 1
	v_cndmask_b32_e32 v4, v8, v4, vcc
	v_lshrrev_b32_e32 v8, 16, v9
	v_and_or_b32 v4, v8, s16, v4
	ds_read2_b32 v[8:9], v7 offset0:126 offset1:144
	v_lshl_or_b32 v1, v4, 16, v1
	global_store_dword v[2:3], v1, off
	s_waitcnt lgkmcnt(0)
	v_lshrrev_b32_e32 v4, 16, v8
	s_waitcnt vmcnt(8)
	v_mul_f16_sdwa v7, v4, v16 dst_sel:DWORD dst_unused:UNUSED_PAD src0_sel:DWORD src1_sel:WORD_1
	v_fma_f16 v7, v8, v16, v7
	v_cvt_f32_f16_e32 v7, v7
	v_mul_f16_sdwa v8, v8, v16 dst_sel:DWORD dst_unused:UNUSED_PAD src0_sel:DWORD src1_sel:WORD_1
	v_fma_f16 v4, v16, v4, -v8
	v_cvt_f32_f16_e32 v4, v4
	v_cvt_f64_f32_e32 v[10:11], v7
	v_mul_f64 v[10:11], v[10:11], s[6:7]
	v_and_or_b32 v1, v11, s10, v10
	v_cmp_ne_u32_e32 vcc, 0, v1
	v_lshrrev_b32_e32 v7, 8, v11
	v_bfe_u32 v10, v11, 20, 11
	v_cndmask_b32_e64 v1, 0, 1, vcc
	v_and_or_b32 v1, v7, s14, v1
	v_sub_u32_e32 v13, 0x3f1, v10
	v_or_b32_e32 v7, 0x1000, v1
	v_med3_i32 v13, v13, 0, 13
	v_lshrrev_b32_e32 v14, v13, v7
	v_lshlrev_b32_e32 v13, v13, v14
	v_cmp_ne_u32_e32 vcc, v13, v7
	v_add_u32_e32 v10, 0xfffffc10, v10
	v_lshl_or_b32 v13, v10, 12, v1
	v_cndmask_b32_e64 v7, 0, 1, vcc
	v_or_b32_e32 v7, v14, v7
	v_cmp_gt_i32_e32 vcc, 1, v10
	s_nop 1
	v_cndmask_b32_e32 v7, v13, v7, vcc
	v_and_b32_e32 v13, 7, v7
	v_cmp_lt_i32_e32 vcc, 5, v13
	v_cmp_eq_u32_e64 s[0:1], 3, v13
	v_lshrrev_b32_e32 v7, 2, v7
	s_or_b64 vcc, s[0:1], vcc
	v_addc_co_u32_e32 v7, vcc, 0, v7, vcc
	v_cmp_gt_i32_e32 vcc, 31, v10
	s_nop 1
	v_cndmask_b32_e32 v7, v6, v7, vcc
	v_cmp_ne_u32_e32 vcc, 0, v1
	s_nop 1
	v_cndmask_b32_e64 v1, 0, 1, vcc
	v_lshl_or_b32 v1, v1, 9, v6
	v_cmp_eq_u32_e32 vcc, s15, v10
	s_nop 1
	v_cndmask_b32_e32 v1, v7, v1, vcc
	v_and_b32_sdwa v7, v11, s16 dst_sel:DWORD dst_unused:UNUSED_PAD src0_sel:WORD_1 src1_sel:DWORD
	v_cvt_f64_f32_e32 v[10:11], v4
	v_mul_f64 v[10:11], v[10:11], s[6:7]
	v_and_or_b32 v4, v11, s10, v10
	v_cmp_ne_u32_e32 vcc, 0, v4
	v_lshrrev_b32_e32 v8, 8, v11
	v_bfe_u32 v10, v11, 20, 11
	v_cndmask_b32_e64 v4, 0, 1, vcc
	v_and_or_b32 v4, v8, s14, v4
	v_sub_u32_e32 v13, 0x3f1, v10
	v_or_b32_e32 v8, 0x1000, v4
	v_med3_i32 v13, v13, 0, 13
	v_lshrrev_b32_e32 v14, v13, v8
	v_lshlrev_b32_e32 v13, v13, v14
	v_cmp_ne_u32_e32 vcc, v13, v8
	v_add_u32_e32 v10, 0xfffffc10, v10
	v_lshl_or_b32 v13, v10, 12, v4
	v_cndmask_b32_e64 v8, 0, 1, vcc
	v_or_b32_e32 v8, v14, v8
	v_cmp_gt_i32_e32 vcc, 1, v10
	v_bitop3_b32 v1, v7, s2, v1 bitop3:0xc8
	v_lshrrev_b32_e32 v7, 16, v9
	v_cndmask_b32_e32 v8, v13, v8, vcc
	v_and_b32_e32 v13, 7, v8
	v_cmp_lt_i32_e32 vcc, 5, v13
	v_cmp_eq_u32_e64 s[0:1], 3, v13
	v_lshrrev_b32_e32 v8, 2, v8
	s_or_b64 vcc, s[0:1], vcc
	v_addc_co_u32_e32 v8, vcc, 0, v8, vcc
	v_cmp_gt_i32_e32 vcc, 31, v10
	v_mad_u64_u32 v[2:3], s[0:1], s8, v0, v[2:3]
	s_nop 0
	v_cndmask_b32_e32 v8, v6, v8, vcc
	v_cmp_ne_u32_e32 vcc, 0, v4
	v_add_u32_e32 v3, s3, v3
	s_nop 0
	v_cndmask_b32_e64 v4, 0, 1, vcc
	v_lshl_or_b32 v4, v4, 9, v6
	v_cmp_eq_u32_e32 vcc, s15, v10
	s_nop 1
	v_cndmask_b32_e32 v4, v8, v4, vcc
	v_lshrrev_b32_e32 v8, 16, v11
	v_and_or_b32 v4, v8, s16, v4
	global_load_dword v8, v5, s[12:13] offset:648
	v_lshl_or_b32 v1, v4, 16, v1
	s_waitcnt vmcnt(2)
	v_mul_f16_sdwa v4, v7, v12 dst_sel:DWORD dst_unused:UNUSED_PAD src0_sel:DWORD src1_sel:WORD_1
	v_fma_f16 v4, v9, v12, v4
	v_cvt_f32_f16_e32 v4, v4
	global_store_dword v[2:3], v1, off
	v_mul_f16_sdwa v9, v9, v12 dst_sel:DWORD dst_unused:UNUSED_PAD src0_sel:DWORD src1_sel:WORD_1
	v_fma_f16 v7, v12, v7, -v9
	v_cvt_f64_f32_e32 v[4:5], v4
	v_mul_f64 v[4:5], v[4:5], s[6:7]
	v_and_or_b32 v1, v5, s10, v4
	v_cmp_ne_u32_e32 vcc, 0, v1
	v_lshrrev_b32_e32 v4, 8, v5
	v_bfe_u32 v10, v5, 20, 11
	v_cndmask_b32_e64 v1, 0, 1, vcc
	v_and_or_b32 v1, v4, s14, v1
	v_sub_u32_e32 v11, 0x3f1, v10
	v_or_b32_e32 v4, 0x1000, v1
	v_med3_i32 v11, v11, 0, 13
	v_lshrrev_b32_e32 v13, v11, v4
	v_lshlrev_b32_e32 v11, v11, v13
	v_cmp_ne_u32_e32 vcc, v11, v4
	v_add_u32_e32 v10, 0xfffffc10, v10
	v_lshl_or_b32 v11, v10, 12, v1
	v_cndmask_b32_e64 v4, 0, 1, vcc
	v_or_b32_e32 v4, v13, v4
	v_cmp_gt_i32_e32 vcc, 1, v10
	v_cvt_f32_f16_e32 v7, v7
	v_and_b32_sdwa v9, v5, s16 dst_sel:DWORD dst_unused:UNUSED_PAD src0_sel:WORD_1 src1_sel:DWORD
	v_cndmask_b32_e32 v4, v11, v4, vcc
	v_and_b32_e32 v11, 7, v4
	v_cmp_lt_i32_e32 vcc, 5, v11
	v_cmp_eq_u32_e64 s[0:1], 3, v11
	v_lshrrev_b32_e32 v4, 2, v4
	s_or_b64 vcc, s[0:1], vcc
	v_addc_co_u32_e32 v4, vcc, 0, v4, vcc
	v_cmp_gt_i32_e32 vcc, 31, v10
	s_nop 1
	v_cndmask_b32_e32 v4, v6, v4, vcc
	v_cmp_ne_u32_e32 vcc, 0, v1
	s_nop 1
	v_cndmask_b32_e64 v1, 0, 1, vcc
	v_lshl_or_b32 v1, v1, 9, v6
	v_cmp_eq_u32_e32 vcc, s15, v10
	s_nop 1
	v_cndmask_b32_e32 v1, v4, v1, vcc
	v_cvt_f64_f32_e32 v[4:5], v7
	v_mul_f64 v[4:5], v[4:5], s[6:7]
	v_and_or_b32 v4, v5, s10, v4
	v_cmp_ne_u32_e32 vcc, 0, v4
	v_lshrrev_b32_e32 v7, 8, v5
	v_bfe_u32 v10, v5, 20, 11
	v_cndmask_b32_e64 v4, 0, 1, vcc
	v_and_or_b32 v4, v7, s14, v4
	v_sub_u32_e32 v11, 0x3f1, v10
	v_or_b32_e32 v7, 0x1000, v4
	v_med3_i32 v11, v11, 0, 13
	v_lshrrev_b32_e32 v12, v11, v7
	v_lshlrev_b32_e32 v11, v11, v12
	v_cmp_ne_u32_e32 vcc, v11, v7
	v_add_u32_e32 v10, 0xfffffc10, v10
	v_lshl_or_b32 v11, v10, 12, v4
	v_cndmask_b32_e64 v7, 0, 1, vcc
	v_or_b32_e32 v7, v12, v7
	v_cmp_gt_i32_e32 vcc, 1, v10
	v_lshrrev_b32_e32 v5, 16, v5
	v_bitop3_b32 v1, v9, s2, v1 bitop3:0xc8
	v_cndmask_b32_e32 v7, v11, v7, vcc
	v_and_b32_e32 v11, 7, v7
	v_cmp_lt_i32_e32 vcc, 5, v11
	v_cmp_eq_u32_e64 s[0:1], 3, v11
	v_lshrrev_b32_e32 v7, 2, v7
	s_or_b64 vcc, s[0:1], vcc
	v_addc_co_u32_e32 v7, vcc, 0, v7, vcc
	v_cmp_gt_i32_e32 vcc, 31, v10
	v_mad_u64_u32 v[2:3], s[0:1], s8, v0, v[2:3]
	s_nop 0
	v_cndmask_b32_e32 v7, v6, v7, vcc
	v_cmp_ne_u32_e32 vcc, 0, v4
	v_add_u32_e32 v3, s3, v3
	s_nop 0
	v_cndmask_b32_e64 v4, 0, 1, vcc
	v_lshl_or_b32 v4, v4, 9, v6
	v_cmp_eq_u32_e32 vcc, s15, v10
	s_nop 1
	v_cndmask_b32_e32 v4, v7, v4, vcc
	v_and_or_b32 v4, v5, s16, v4
	v_lshrrev_b32_e32 v7, 16, v17
	v_lshl_or_b32 v1, v4, 16, v1
	s_waitcnt vmcnt(1)
	v_mul_f16_sdwa v4, v7, v8 dst_sel:DWORD dst_unused:UNUSED_PAD src0_sel:DWORD src1_sel:WORD_1
	v_fma_f16 v4, v17, v8, v4
	v_cvt_f32_f16_e32 v4, v4
	global_store_dword v[2:3], v1, off
	v_cvt_f64_f32_e32 v[4:5], v4
	v_mul_f64 v[4:5], v[4:5], s[6:7]
	v_and_or_b32 v1, v5, s10, v4
	v_cmp_ne_u32_e32 vcc, 0, v1
	v_lshrrev_b32_e32 v4, 8, v5
	v_bfe_u32 v9, v5, 20, 11
	v_cndmask_b32_e64 v1, 0, 1, vcc
	v_and_or_b32 v1, v4, s14, v1
	v_sub_u32_e32 v10, 0x3f1, v9
	v_or_b32_e32 v4, 0x1000, v1
	v_med3_i32 v10, v10, 0, 13
	v_lshrrev_b32_e32 v11, v10, v4
	v_lshlrev_b32_e32 v10, v10, v11
	v_cmp_ne_u32_e32 vcc, v10, v4
	v_add_u32_e32 v9, 0xfffffc10, v9
	v_lshl_or_b32 v10, v9, 12, v1
	v_cndmask_b32_e64 v4, 0, 1, vcc
	v_or_b32_e32 v4, v11, v4
	v_cmp_gt_i32_e32 vcc, 1, v9
	s_nop 1
	v_cndmask_b32_e32 v4, v10, v4, vcc
	v_and_b32_e32 v10, 7, v4
	v_cmp_lt_i32_e32 vcc, 5, v10
	v_cmp_eq_u32_e64 s[0:1], 3, v10
	v_lshrrev_b32_e32 v4, 2, v4
	s_or_b64 vcc, s[0:1], vcc
	v_mul_f16_sdwa v10, v17, v8 dst_sel:DWORD dst_unused:UNUSED_PAD src0_sel:DWORD src1_sel:WORD_1
	v_addc_co_u32_e32 v4, vcc, 0, v4, vcc
	v_fma_f16 v7, v8, v7, -v10
	v_cmp_gt_i32_e32 vcc, 31, v9
	v_cvt_f32_f16_e32 v7, v7
	v_and_b32_sdwa v8, v5, s16 dst_sel:DWORD dst_unused:UNUSED_PAD src0_sel:WORD_1 src1_sel:DWORD
	v_cndmask_b32_e32 v4, v6, v4, vcc
	v_cmp_ne_u32_e32 vcc, 0, v1
	s_nop 1
	v_cndmask_b32_e64 v1, 0, 1, vcc
	v_lshl_or_b32 v1, v1, 9, v6
	v_cmp_eq_u32_e32 vcc, s15, v9
	s_nop 1
	v_cndmask_b32_e32 v1, v4, v1, vcc
	v_cvt_f64_f32_e32 v[4:5], v7
	v_mul_f64 v[4:5], v[4:5], s[6:7]
	v_and_or_b32 v4, v5, s10, v4
	v_cmp_ne_u32_e32 vcc, 0, v4
	v_lshrrev_b32_e32 v7, 8, v5
	v_bfe_u32 v9, v5, 20, 11
	v_cndmask_b32_e64 v4, 0, 1, vcc
	v_and_or_b32 v4, v7, s14, v4
	v_sub_u32_e32 v10, 0x3f1, v9
	v_or_b32_e32 v7, 0x1000, v4
	v_med3_i32 v10, v10, 0, 13
	v_lshrrev_b32_e32 v11, v10, v7
	v_lshlrev_b32_e32 v10, v10, v11
	v_cmp_ne_u32_e32 vcc, v10, v7
	v_add_u32_e32 v9, 0xfffffc10, v9
	v_lshl_or_b32 v10, v9, 12, v4
	v_cndmask_b32_e64 v7, 0, 1, vcc
	v_or_b32_e32 v7, v11, v7
	v_cmp_gt_i32_e32 vcc, 1, v9
	v_lshrrev_b32_e32 v5, 16, v5
	v_bitop3_b32 v1, v8, s2, v1 bitop3:0xc8
	v_cndmask_b32_e32 v7, v10, v7, vcc
	v_and_b32_e32 v10, 7, v7
	v_cmp_lt_i32_e32 vcc, 5, v10
	v_cmp_eq_u32_e64 s[0:1], 3, v10
	v_lshrrev_b32_e32 v7, 2, v7
	s_or_b64 vcc, s[0:1], vcc
	v_addc_co_u32_e32 v7, vcc, 0, v7, vcc
	v_cmp_gt_i32_e32 vcc, 31, v9
	s_nop 1
	v_cndmask_b32_e32 v7, v6, v7, vcc
	v_cmp_ne_u32_e32 vcc, 0, v4
	s_nop 1
	v_cndmask_b32_e64 v4, 0, 1, vcc
	v_lshl_or_b32 v4, v4, 9, v6
	v_cmp_eq_u32_e32 vcc, s15, v9
	s_nop 1
	v_cndmask_b32_e32 v4, v7, v4, vcc
	v_and_or_b32 v4, v5, s16, v4
	v_lshl_or_b32 v4, v4, 16, v1
	v_mad_u64_u32 v[0:1], s[0:1], s8, v0, v[2:3]
	v_add_u32_e32 v1, s3, v1
	global_store_dword v[0:1], v4, off
.LBB0_23:
	s_endpgm
	.section	.rodata,"a",@progbits
	.p2align	6, 0x0
	.amdhsa_kernel bluestein_single_back_len180_dim1_half_op_CI_CI
		.amdhsa_group_segment_fixed_size 2880
		.amdhsa_private_segment_fixed_size 0
		.amdhsa_kernarg_size 104
		.amdhsa_user_sgpr_count 2
		.amdhsa_user_sgpr_dispatch_ptr 0
		.amdhsa_user_sgpr_queue_ptr 0
		.amdhsa_user_sgpr_kernarg_segment_ptr 1
		.amdhsa_user_sgpr_dispatch_id 0
		.amdhsa_user_sgpr_kernarg_preload_length 0
		.amdhsa_user_sgpr_kernarg_preload_offset 0
		.amdhsa_user_sgpr_private_segment_size 0
		.amdhsa_uses_dynamic_stack 0
		.amdhsa_enable_private_segment 0
		.amdhsa_system_sgpr_workgroup_id_x 1
		.amdhsa_system_sgpr_workgroup_id_y 0
		.amdhsa_system_sgpr_workgroup_id_z 0
		.amdhsa_system_sgpr_workgroup_info 0
		.amdhsa_system_vgpr_workitem_id 0
		.amdhsa_next_free_vgpr 83
		.amdhsa_next_free_sgpr 17
		.amdhsa_accum_offset 84
		.amdhsa_reserve_vcc 1
		.amdhsa_float_round_mode_32 0
		.amdhsa_float_round_mode_16_64 0
		.amdhsa_float_denorm_mode_32 3
		.amdhsa_float_denorm_mode_16_64 3
		.amdhsa_dx10_clamp 1
		.amdhsa_ieee_mode 1
		.amdhsa_fp16_overflow 0
		.amdhsa_tg_split 0
		.amdhsa_exception_fp_ieee_invalid_op 0
		.amdhsa_exception_fp_denorm_src 0
		.amdhsa_exception_fp_ieee_div_zero 0
		.amdhsa_exception_fp_ieee_overflow 0
		.amdhsa_exception_fp_ieee_underflow 0
		.amdhsa_exception_fp_ieee_inexact 0
		.amdhsa_exception_int_div_zero 0
	.end_amdhsa_kernel
	.text
.Lfunc_end0:
	.size	bluestein_single_back_len180_dim1_half_op_CI_CI, .Lfunc_end0-bluestein_single_back_len180_dim1_half_op_CI_CI
                                        ; -- End function
	.section	.AMDGPU.csdata,"",@progbits
; Kernel info:
; codeLenInByte = 11348
; NumSgprs: 23
; NumVgprs: 83
; NumAgprs: 0
; TotalNumVgprs: 83
; ScratchSize: 0
; MemoryBound: 0
; FloatMode: 240
; IeeeMode: 1
; LDSByteSize: 2880 bytes/workgroup (compile time only)
; SGPRBlocks: 2
; VGPRBlocks: 10
; NumSGPRsForWavesPerEU: 23
; NumVGPRsForWavesPerEU: 83
; AccumOffset: 84
; Occupancy: 5
; WaveLimiterHint : 1
; COMPUTE_PGM_RSRC2:SCRATCH_EN: 0
; COMPUTE_PGM_RSRC2:USER_SGPR: 2
; COMPUTE_PGM_RSRC2:TRAP_HANDLER: 0
; COMPUTE_PGM_RSRC2:TGID_X_EN: 1
; COMPUTE_PGM_RSRC2:TGID_Y_EN: 0
; COMPUTE_PGM_RSRC2:TGID_Z_EN: 0
; COMPUTE_PGM_RSRC2:TIDIG_COMP_CNT: 0
; COMPUTE_PGM_RSRC3_GFX90A:ACCUM_OFFSET: 20
; COMPUTE_PGM_RSRC3_GFX90A:TG_SPLIT: 0
	.text
	.p2alignl 6, 3212836864
	.fill 256, 4, 3212836864
	.type	__hip_cuid_93ac2ae15205a5bd,@object ; @__hip_cuid_93ac2ae15205a5bd
	.section	.bss,"aw",@nobits
	.globl	__hip_cuid_93ac2ae15205a5bd
__hip_cuid_93ac2ae15205a5bd:
	.byte	0                               ; 0x0
	.size	__hip_cuid_93ac2ae15205a5bd, 1

	.ident	"AMD clang version 19.0.0git (https://github.com/RadeonOpenCompute/llvm-project roc-6.4.0 25133 c7fe45cf4b819c5991fe208aaa96edf142730f1d)"
	.section	".note.GNU-stack","",@progbits
	.addrsig
	.addrsig_sym __hip_cuid_93ac2ae15205a5bd
	.amdgpu_metadata
---
amdhsa.kernels:
  - .agpr_count:     0
    .args:
      - .actual_access:  read_only
        .address_space:  global
        .offset:         0
        .size:           8
        .value_kind:     global_buffer
      - .actual_access:  read_only
        .address_space:  global
        .offset:         8
        .size:           8
        .value_kind:     global_buffer
      - .actual_access:  read_only
        .address_space:  global
        .offset:         16
        .size:           8
        .value_kind:     global_buffer
      - .actual_access:  read_only
        .address_space:  global
        .offset:         24
        .size:           8
        .value_kind:     global_buffer
      - .actual_access:  read_only
        .address_space:  global
        .offset:         32
        .size:           8
        .value_kind:     global_buffer
      - .offset:         40
        .size:           8
        .value_kind:     by_value
      - .address_space:  global
        .offset:         48
        .size:           8
        .value_kind:     global_buffer
      - .address_space:  global
        .offset:         56
        .size:           8
        .value_kind:     global_buffer
      - .address_space:  global
        .offset:         64
        .size:           8
        .value_kind:     global_buffer
      - .address_space:  global
        .offset:         72
        .size:           8
        .value_kind:     global_buffer
      - .offset:         80
        .size:           4
        .value_kind:     by_value
      - .address_space:  global
        .offset:         88
        .size:           8
        .value_kind:     global_buffer
      - .address_space:  global
        .offset:         96
        .size:           8
        .value_kind:     global_buffer
    .group_segment_fixed_size: 2880
    .kernarg_segment_align: 8
    .kernarg_segment_size: 104
    .language:       OpenCL C
    .language_version:
      - 2
      - 0
    .max_flat_workgroup_size: 240
    .name:           bluestein_single_back_len180_dim1_half_op_CI_CI
    .private_segment_fixed_size: 0
    .sgpr_count:     23
    .sgpr_spill_count: 0
    .symbol:         bluestein_single_back_len180_dim1_half_op_CI_CI.kd
    .uniform_work_group_size: 1
    .uses_dynamic_stack: false
    .vgpr_count:     83
    .vgpr_spill_count: 0
    .wavefront_size: 64
amdhsa.target:   amdgcn-amd-amdhsa--gfx950
amdhsa.version:
  - 1
  - 2
...

	.end_amdgpu_metadata
